;; amdgpu-corpus repo=ROCm/rocFFT kind=compiled arch=gfx906 opt=O3
	.text
	.amdgcn_target "amdgcn-amd-amdhsa--gfx906"
	.amdhsa_code_object_version 6
	.protected	fft_rtc_fwd_len1428_factors_17_2_7_6_wgs_119_tpt_119_halfLds_sp_ip_CI_unitstride_sbrr_R2C_dirReg ; -- Begin function fft_rtc_fwd_len1428_factors_17_2_7_6_wgs_119_tpt_119_halfLds_sp_ip_CI_unitstride_sbrr_R2C_dirReg
	.globl	fft_rtc_fwd_len1428_factors_17_2_7_6_wgs_119_tpt_119_halfLds_sp_ip_CI_unitstride_sbrr_R2C_dirReg
	.p2align	8
	.type	fft_rtc_fwd_len1428_factors_17_2_7_6_wgs_119_tpt_119_halfLds_sp_ip_CI_unitstride_sbrr_R2C_dirReg,@function
fft_rtc_fwd_len1428_factors_17_2_7_6_wgs_119_tpt_119_halfLds_sp_ip_CI_unitstride_sbrr_R2C_dirReg: ; @fft_rtc_fwd_len1428_factors_17_2_7_6_wgs_119_tpt_119_halfLds_sp_ip_CI_unitstride_sbrr_R2C_dirReg
; %bb.0:
	s_load_dwordx2 s[2:3], s[4:5], 0x50
	s_load_dwordx4 s[8:11], s[4:5], 0x0
	s_load_dwordx2 s[12:13], s[4:5], 0x18
	v_mul_u32_u24_e32 v1, 0x227, v0
	v_add_u32_sdwa v5, s6, v1 dst_sel:DWORD dst_unused:UNUSED_PAD src0_sel:DWORD src1_sel:WORD_1
	v_mov_b32_e32 v3, 0
	s_waitcnt lgkmcnt(0)
	v_cmp_lt_u64_e64 s[0:1], s[10:11], 2
	v_mov_b32_e32 v1, 0
	v_mov_b32_e32 v6, v3
	s_and_b64 vcc, exec, s[0:1]
	v_mov_b32_e32 v2, 0
	s_cbranch_vccnz .LBB0_8
; %bb.1:
	s_load_dwordx2 s[0:1], s[4:5], 0x10
	s_add_u32 s6, s12, 8
	s_addc_u32 s7, s13, 0
	v_mov_b32_e32 v1, 0
	v_mov_b32_e32 v2, 0
	s_waitcnt lgkmcnt(0)
	s_add_u32 s14, s0, 8
	s_addc_u32 s15, s1, 0
	s_mov_b64 s[16:17], 1
.LBB0_2:                                ; =>This Inner Loop Header: Depth=1
	s_load_dwordx2 s[18:19], s[14:15], 0x0
                                        ; implicit-def: $vgpr7_vgpr8
	s_waitcnt lgkmcnt(0)
	v_or_b32_e32 v4, s19, v6
	v_cmp_ne_u64_e32 vcc, 0, v[3:4]
	s_and_saveexec_b64 s[0:1], vcc
	s_xor_b64 s[20:21], exec, s[0:1]
	s_cbranch_execz .LBB0_4
; %bb.3:                                ;   in Loop: Header=BB0_2 Depth=1
	v_cvt_f32_u32_e32 v4, s18
	v_cvt_f32_u32_e32 v7, s19
	s_sub_u32 s0, 0, s18
	s_subb_u32 s1, 0, s19
	v_mac_f32_e32 v4, 0x4f800000, v7
	v_rcp_f32_e32 v4, v4
	v_mul_f32_e32 v4, 0x5f7ffffc, v4
	v_mul_f32_e32 v7, 0x2f800000, v4
	v_trunc_f32_e32 v7, v7
	v_mac_f32_e32 v4, 0xcf800000, v7
	v_cvt_u32_f32_e32 v7, v7
	v_cvt_u32_f32_e32 v4, v4
	v_mul_lo_u32 v8, s0, v7
	v_mul_hi_u32 v9, s0, v4
	v_mul_lo_u32 v11, s1, v4
	v_mul_lo_u32 v10, s0, v4
	v_add_u32_e32 v8, v9, v8
	v_add_u32_e32 v8, v8, v11
	v_mul_hi_u32 v9, v4, v10
	v_mul_lo_u32 v11, v4, v8
	v_mul_hi_u32 v13, v4, v8
	v_mul_hi_u32 v12, v7, v10
	v_mul_lo_u32 v10, v7, v10
	v_mul_hi_u32 v14, v7, v8
	v_add_co_u32_e32 v9, vcc, v9, v11
	v_addc_co_u32_e32 v11, vcc, 0, v13, vcc
	v_mul_lo_u32 v8, v7, v8
	v_add_co_u32_e32 v9, vcc, v9, v10
	v_addc_co_u32_e32 v9, vcc, v11, v12, vcc
	v_addc_co_u32_e32 v10, vcc, 0, v14, vcc
	v_add_co_u32_e32 v8, vcc, v9, v8
	v_addc_co_u32_e32 v9, vcc, 0, v10, vcc
	v_add_co_u32_e32 v4, vcc, v4, v8
	v_addc_co_u32_e32 v7, vcc, v7, v9, vcc
	v_mul_lo_u32 v8, s0, v7
	v_mul_hi_u32 v9, s0, v4
	v_mul_lo_u32 v10, s1, v4
	v_mul_lo_u32 v11, s0, v4
	v_add_u32_e32 v8, v9, v8
	v_add_u32_e32 v8, v8, v10
	v_mul_lo_u32 v12, v4, v8
	v_mul_hi_u32 v13, v4, v11
	v_mul_hi_u32 v14, v4, v8
	;; [unrolled: 1-line block ×3, first 2 shown]
	v_mul_lo_u32 v11, v7, v11
	v_mul_hi_u32 v9, v7, v8
	v_add_co_u32_e32 v12, vcc, v13, v12
	v_addc_co_u32_e32 v13, vcc, 0, v14, vcc
	v_mul_lo_u32 v8, v7, v8
	v_add_co_u32_e32 v11, vcc, v12, v11
	v_addc_co_u32_e32 v10, vcc, v13, v10, vcc
	v_addc_co_u32_e32 v9, vcc, 0, v9, vcc
	v_add_co_u32_e32 v8, vcc, v10, v8
	v_addc_co_u32_e32 v9, vcc, 0, v9, vcc
	v_add_co_u32_e32 v4, vcc, v4, v8
	v_addc_co_u32_e32 v9, vcc, v7, v9, vcc
	v_mad_u64_u32 v[7:8], s[0:1], v5, v9, 0
	v_mul_hi_u32 v10, v5, v4
	v_add_co_u32_e32 v11, vcc, v10, v7
	v_addc_co_u32_e32 v12, vcc, 0, v8, vcc
	v_mad_u64_u32 v[7:8], s[0:1], v6, v4, 0
	v_mad_u64_u32 v[9:10], s[0:1], v6, v9, 0
	v_add_co_u32_e32 v4, vcc, v11, v7
	v_addc_co_u32_e32 v4, vcc, v12, v8, vcc
	v_addc_co_u32_e32 v7, vcc, 0, v10, vcc
	v_add_co_u32_e32 v4, vcc, v4, v9
	v_addc_co_u32_e32 v9, vcc, 0, v7, vcc
	v_mul_lo_u32 v10, s19, v4
	v_mul_lo_u32 v11, s18, v9
	v_mad_u64_u32 v[7:8], s[0:1], s18, v4, 0
	v_add3_u32 v8, v8, v11, v10
	v_sub_u32_e32 v10, v6, v8
	v_mov_b32_e32 v11, s19
	v_sub_co_u32_e32 v7, vcc, v5, v7
	v_subb_co_u32_e64 v10, s[0:1], v10, v11, vcc
	v_subrev_co_u32_e64 v11, s[0:1], s18, v7
	v_subbrev_co_u32_e64 v10, s[0:1], 0, v10, s[0:1]
	v_cmp_le_u32_e64 s[0:1], s19, v10
	v_cndmask_b32_e64 v12, 0, -1, s[0:1]
	v_cmp_le_u32_e64 s[0:1], s18, v11
	v_cndmask_b32_e64 v11, 0, -1, s[0:1]
	v_cmp_eq_u32_e64 s[0:1], s19, v10
	v_cndmask_b32_e64 v10, v12, v11, s[0:1]
	v_add_co_u32_e64 v11, s[0:1], 2, v4
	v_addc_co_u32_e64 v12, s[0:1], 0, v9, s[0:1]
	v_add_co_u32_e64 v13, s[0:1], 1, v4
	v_addc_co_u32_e64 v14, s[0:1], 0, v9, s[0:1]
	v_subb_co_u32_e32 v8, vcc, v6, v8, vcc
	v_cmp_ne_u32_e64 s[0:1], 0, v10
	v_cmp_le_u32_e32 vcc, s19, v8
	v_cndmask_b32_e64 v10, v14, v12, s[0:1]
	v_cndmask_b32_e64 v12, 0, -1, vcc
	v_cmp_le_u32_e32 vcc, s18, v7
	v_cndmask_b32_e64 v7, 0, -1, vcc
	v_cmp_eq_u32_e32 vcc, s19, v8
	v_cndmask_b32_e32 v7, v12, v7, vcc
	v_cmp_ne_u32_e32 vcc, 0, v7
	v_cndmask_b32_e64 v7, v13, v11, s[0:1]
	v_cndmask_b32_e32 v8, v9, v10, vcc
	v_cndmask_b32_e32 v7, v4, v7, vcc
.LBB0_4:                                ;   in Loop: Header=BB0_2 Depth=1
	s_andn2_saveexec_b64 s[0:1], s[20:21]
	s_cbranch_execz .LBB0_6
; %bb.5:                                ;   in Loop: Header=BB0_2 Depth=1
	v_cvt_f32_u32_e32 v4, s18
	s_sub_i32 s20, 0, s18
	v_rcp_iflag_f32_e32 v4, v4
	v_mul_f32_e32 v4, 0x4f7ffffe, v4
	v_cvt_u32_f32_e32 v4, v4
	v_mul_lo_u32 v7, s20, v4
	v_mul_hi_u32 v7, v4, v7
	v_add_u32_e32 v4, v4, v7
	v_mul_hi_u32 v4, v5, v4
	v_mul_lo_u32 v7, v4, s18
	v_add_u32_e32 v8, 1, v4
	v_sub_u32_e32 v7, v5, v7
	v_subrev_u32_e32 v9, s18, v7
	v_cmp_le_u32_e32 vcc, s18, v7
	v_cndmask_b32_e32 v7, v7, v9, vcc
	v_cndmask_b32_e32 v4, v4, v8, vcc
	v_add_u32_e32 v8, 1, v4
	v_cmp_le_u32_e32 vcc, s18, v7
	v_cndmask_b32_e32 v7, v4, v8, vcc
	v_mov_b32_e32 v8, v3
.LBB0_6:                                ;   in Loop: Header=BB0_2 Depth=1
	s_or_b64 exec, exec, s[0:1]
	v_mul_lo_u32 v4, v8, s18
	v_mul_lo_u32 v11, v7, s19
	v_mad_u64_u32 v[9:10], s[0:1], v7, s18, 0
	s_load_dwordx2 s[0:1], s[6:7], 0x0
	s_add_u32 s16, s16, 1
	v_add3_u32 v4, v10, v11, v4
	v_sub_co_u32_e32 v5, vcc, v5, v9
	v_subb_co_u32_e32 v4, vcc, v6, v4, vcc
	s_waitcnt lgkmcnt(0)
	v_mul_lo_u32 v4, s0, v4
	v_mul_lo_u32 v6, s1, v5
	v_mad_u64_u32 v[1:2], s[0:1], s0, v5, v[1:2]
	s_addc_u32 s17, s17, 0
	s_add_u32 s6, s6, 8
	v_add3_u32 v2, v6, v2, v4
	v_mov_b32_e32 v4, s10
	v_mov_b32_e32 v5, s11
	s_addc_u32 s7, s7, 0
	v_cmp_ge_u64_e32 vcc, s[16:17], v[4:5]
	s_add_u32 s14, s14, 8
	s_addc_u32 s15, s15, 0
	s_cbranch_vccnz .LBB0_9
; %bb.7:                                ;   in Loop: Header=BB0_2 Depth=1
	v_mov_b32_e32 v5, v7
	v_mov_b32_e32 v6, v8
	s_branch .LBB0_2
.LBB0_8:
	v_mov_b32_e32 v8, v6
	v_mov_b32_e32 v7, v5
.LBB0_9:
	s_lshl_b64 s[0:1], s[10:11], 3
	s_add_u32 s0, s12, s0
	s_addc_u32 s1, s13, s1
	s_load_dwordx2 s[6:7], s[0:1], 0x0
	s_load_dwordx2 s[10:11], s[4:5], 0x20
	s_waitcnt lgkmcnt(0)
	v_mad_u64_u32 v[1:2], s[0:1], s6, v7, v[1:2]
	s_mov_b32 s0, 0x226b903
	v_mul_lo_u32 v3, s6, v8
	v_mul_lo_u32 v4, s7, v7
	v_mul_hi_u32 v5, v0, s0
	v_cmp_gt_u64_e64 s[0:1], s[10:11], v[7:8]
	v_add3_u32 v2, v4, v2, v3
	v_mul_u32_u24_e32 v3, 0x77, v5
	v_sub_u32_e32 v36, v0, v3
	v_lshlrev_b64 v[38:39], 3, v[1:2]
	v_lshl_add_u32 v56, v36, 3, 0
	s_and_saveexec_b64 s[4:5], s[0:1]
	s_cbranch_execz .LBB0_11
; %bb.10:
	v_mov_b32_e32 v37, 0
	v_mov_b32_e32 v0, s3
	v_add_co_u32_e32 v2, vcc, s2, v38
	v_addc_co_u32_e32 v3, vcc, v0, v39, vcc
	v_lshlrev_b64 v[0:1], 3, v[36:37]
	s_movk_i32 s6, 0x1000
	v_add_co_u32_e32 v0, vcc, v2, v0
	v_addc_co_u32_e32 v1, vcc, v3, v1, vcc
	v_add_co_u32_e32 v10, vcc, s6, v0
	v_addc_co_u32_e32 v11, vcc, 0, v1, vcc
	v_add_co_u32_e32 v12, vcc, 0x2000, v0
	global_load_dwordx2 v[2:3], v[0:1], off offset:2856
	global_load_dwordx2 v[4:5], v[0:1], off
	global_load_dwordx2 v[6:7], v[0:1], off offset:1904
	global_load_dwordx2 v[8:9], v[0:1], off offset:952
	;; [unrolled: 1-line block ×6, first 2 shown]
	v_addc_co_u32_e32 v13, vcc, 0, v1, vcc
	global_load_dwordx2 v[0:1], v[10:11], off offset:3520
	global_load_dwordx2 v[22:23], v[12:13], off offset:376
	global_load_dwordx2 v[24:25], v[12:13], off offset:1328
	global_load_dwordx2 v[26:27], v[12:13], off offset:2280
	v_add_u32_e32 v10, 0x400, v56
	v_add_u32_e32 v11, 0xc00, v56
	;; [unrolled: 1-line block ×5, first 2 shown]
	s_waitcnt vmcnt(9)
	ds_write2_b64 v10, v[6:7], v[2:3] offset0:110 offset1:229
	s_waitcnt vmcnt(8)
	ds_write2_b64 v56, v[4:5], v[8:9] offset1:119
	s_waitcnt vmcnt(6)
	ds_write2_b64 v11, v[14:15], v[16:17] offset0:92 offset1:211
	s_waitcnt vmcnt(4)
	ds_write2_b64 v12, v[18:19], v[20:21] offset0:74 offset1:193
	;; [unrolled: 2-line block ×4, first 2 shown]
.LBB0_11:
	s_or_b64 exec, exec, s[4:5]
	v_add_u32_e32 v0, 0x2000, v56
	s_waitcnt lgkmcnt(0)
	s_barrier
	ds_read2_b64 v[4:7], v56 offset1:84
	ds_read_b64 v[40:41], v56 offset:10752
	ds_read2_b64 v[16:19], v56 offset0:168 offset1:252
	ds_read2_b64 v[8:11], v0 offset0:152 offset1:236
	s_mov_b32 s6, 0x3dbcf732
	s_mov_b32 s7, 0xbf7ba420
	s_waitcnt lgkmcnt(2)
	v_sub_f32_e32 v73, v7, v41
	v_mul_f32_e32 v54, 0xbf7ee86f, v73
	s_waitcnt lgkmcnt(0)
	v_sub_f32_e32 v75, v17, v11
	v_add_f32_e32 v59, v40, v6
	v_mov_b32_e32 v0, v54
	v_mul_f32_e32 v55, 0xbe3c28d5, v75
	v_sub_f32_e32 v77, v6, v40
	v_fmac_f32_e32 v0, 0x3dbcf732, v59
	v_add_f32_e32 v60, v10, v16
	v_mov_b32_e32 v1, v55
	v_add_f32_e32 v61, v41, v7
	v_mul_f32_e32 v108, 0xbf7ee86f, v77
	v_add_f32_e32 v0, v4, v0
	v_fmac_f32_e32 v1, 0xbf7ba420, v60
	v_sub_f32_e32 v79, v16, v10
	v_add_f32_e32 v0, v1, v0
	v_fma_f32 v1, v61, s6, -v108
	v_add_f32_e32 v63, v11, v17
	v_mul_f32_e32 v109, 0xbe3c28d5, v79
	v_sub_f32_e32 v78, v19, v9
	v_add_f32_e32 v1, v5, v1
	v_fma_f32 v2, v63, s7, -v109
	v_mul_f32_e32 v107, 0x3f763a35, v78
	v_add_f32_e32 v1, v2, v1
	v_add_f32_e32 v62, v8, v18
	v_mov_b32_e32 v2, v107
	v_fmac_f32_e32 v2, 0xbe8c1d8e, v62
	v_add_f32_e32 v0, v2, v0
	v_add_u32_e32 v2, 0x800, v56
	v_add_u32_e32 v58, 0x1c00, v56
	ds_read2_b64 v[24:27], v2 offset0:80 offset1:164
	ds_read2_b64 v[12:15], v58 offset0:112 offset1:196
	v_sub_f32_e32 v81, v18, v8
	s_mov_b32 s10, 0xbe8c1d8e
	v_add_f32_e32 v65, v9, v19
	v_mul_f32_e32 v112, 0x3f763a35, v81
	s_waitcnt lgkmcnt(0)
	v_sub_f32_e32 v80, v25, v15
	v_add_u32_e32 v57, 0xc00, v56
	v_fma_f32 v2, v65, s10, -v112
	v_mul_f32_e32 v110, 0x3eb8f4ab, v80
	v_add_u32_e32 v37, 0x1800, v56
	ds_read2_b64 v[28:31], v57 offset0:120 offset1:204
	ds_read2_b64 v[20:23], v37 offset0:72 offset1:156
	v_add_f32_e32 v1, v2, v1
	v_add_f32_e32 v64, v14, v24
	v_mov_b32_e32 v2, v110
	v_sub_f32_e32 v83, v24, v14
	v_fmac_f32_e32 v2, 0x3f6eb680, v64
	s_mov_b32 s11, 0x3f6eb680
	v_add_f32_e32 v67, v15, v25
	v_mul_f32_e32 v113, 0x3eb8f4ab, v83
	v_sub_f32_e32 v82, v27, v13
	v_add_f32_e32 v0, v2, v0
	v_fma_f32 v2, v67, s11, -v113
	v_mul_f32_e32 v111, 0xbf65296c, v82
	v_add_f32_e32 v1, v2, v1
	v_add_f32_e32 v66, v12, v26
	v_mov_b32_e32 v2, v111
	v_sub_f32_e32 v85, v26, v12
	v_fmac_f32_e32 v2, 0x3ee437d1, v66
	s_mov_b32 s12, 0x3ee437d1
	v_add_f32_e32 v69, v13, v27
	v_mul_f32_e32 v115, 0xbf65296c, v85
	s_waitcnt lgkmcnt(0)
	v_sub_f32_e32 v84, v29, v23
	v_add_f32_e32 v0, v2, v0
	v_fma_f32 v2, v69, s12, -v115
	v_mul_f32_e32 v114, 0xbf06c442, v84
	v_add_f32_e32 v1, v2, v1
	v_add_f32_e32 v68, v22, v28
	v_mov_b32_e32 v2, v114
	v_sub_f32_e32 v87, v28, v22
	v_fmac_f32_e32 v2, 0xbf59a7d5, v68
	s_mov_b32 s13, 0xbf59a7d5
	v_add_f32_e32 v71, v23, v29
	v_mul_f32_e32 v117, 0xbf06c442, v87
	v_sub_f32_e32 v86, v31, v21
	v_add_f32_e32 v0, v2, v0
	v_fma_f32 v2, v71, s13, -v117
	v_mul_f32_e32 v116, 0x3f4c4adb, v86
	v_add_f32_e32 v1, v2, v1
	v_add_f32_e32 v70, v20, v30
	v_mov_b32_e32 v2, v116
	v_fmac_f32_e32 v2, 0xbf1a4643, v70
	v_add_f32_e32 v0, v2, v0
	v_add_u32_e32 v2, 0x1000, v56
	ds_read2_b64 v[32:35], v2 offset0:160 offset1:244
	v_sub_f32_e32 v89, v30, v20
	s_mov_b32 s14, 0xbf1a4643
	v_add_f32_e32 v74, v21, v31
	v_mul_f32_e32 v119, 0x3f4c4adb, v89
	s_waitcnt lgkmcnt(0)
	v_sub_f32_e32 v88, v33, v35
	v_fma_f32 v2, v74, s14, -v119
	v_mul_f32_e32 v118, 0x3f2c7751, v88
	v_add_f32_e32 v1, v2, v1
	v_add_f32_e32 v72, v34, v32
	v_mov_b32_e32 v2, v118
	v_sub_f32_e32 v90, v32, v34
	s_mov_b32 s15, 0x3f3d2fb0
	v_fmac_f32_e32 v2, 0x3f3d2fb0, v72
	v_add_f32_e32 v76, v35, v33
	v_mul_f32_e32 v120, 0x3f2c7751, v90
	v_mul_f32_e32 v52, 0xbf763a35, v73
	v_fma_f32 v3, v76, s15, -v120
	v_add_f32_e32 v2, v2, v0
	v_mov_b32_e32 v0, v52
	v_mul_f32_e32 v53, 0x3f06c442, v75
	v_add_f32_e32 v3, v3, v1
	v_fmac_f32_e32 v0, 0xbe8c1d8e, v59
	v_mov_b32_e32 v1, v53
	v_add_f32_e32 v0, v4, v0
	v_fmac_f32_e32 v1, 0xbf59a7d5, v60
	v_mul_f32_e32 v121, 0x3f2c7751, v78
	v_add_f32_e32 v0, v1, v0
	v_mov_b32_e32 v1, v121
	v_fmac_f32_e32 v1, 0x3f3d2fb0, v62
	v_mul_f32_e32 v122, 0xbf65296c, v80
	v_add_f32_e32 v0, v1, v0
	v_mov_b32_e32 v1, v122
	;; [unrolled: 4-line block ×6, first 2 shown]
	v_fmac_f32_e32 v1, 0xbf1a4643, v72
	v_mul_f32_e32 v133, 0xbf763a35, v77
	v_add_f32_e32 v0, v1, v0
	v_fma_f32 v1, v61, s10, -v133
	v_mul_f32_e32 v134, 0x3f06c442, v79
	v_add_f32_e32 v1, v5, v1
	v_fma_f32 v42, v63, s13, -v134
	;; [unrolled: 3-line block ×8, first 2 shown]
	s_movk_i32 s4, 0x54
	v_add_f32_e32 v1, v42, v1
	v_cmp_gt_u32_e32 vcc, s4, v36
	s_barrier
	s_and_saveexec_b64 s[4:5], vcc
	s_cbranch_execz .LBB0_13
; %bb.12:
	v_mul_f32_e32 v50, 0xbf1a4643, v61
	v_mov_b32_e32 v42, v50
	v_mul_f32_e32 v51, 0xbe8c1d8e, v63
	v_fmac_f32_e32 v42, 0x3f4c4adb, v77
	v_mov_b32_e32 v43, v51
	v_add_f32_e32 v42, v5, v42
	v_fmac_f32_e32 v43, 0xbf763a35, v79
	v_mul_f32_e32 v135, 0x3f6eb680, v65
	v_add_f32_e32 v42, v43, v42
	v_mov_b32_e32 v43, v135
	v_fmac_f32_e32 v43, 0x3eb8f4ab, v81
	v_mul_f32_e32 v136, 0xbf59a7d5, v67
	v_add_f32_e32 v42, v43, v42
	v_mov_b32_e32 v43, v136
	;; [unrolled: 4-line block ×6, first 2 shown]
	v_mul_f32_e32 v141, 0x3f763a35, v75
	v_fmac_f32_e32 v43, 0xbf1a4643, v59
	v_mov_b32_e32 v44, v141
	v_add_f32_e32 v43, v4, v43
	v_fmac_f32_e32 v44, 0xbe8c1d8e, v60
	v_mul_f32_e32 v142, 0xbeb8f4ab, v78
	v_add_f32_e32 v43, v44, v43
	v_mov_b32_e32 v44, v142
	v_fmac_f32_e32 v44, 0x3f6eb680, v62
	v_mul_f32_e32 v143, 0xbf06c442, v80
	v_add_f32_e32 v43, v44, v43
	v_mov_b32_e32 v44, v143
	v_fmac_f32_e32 v50, 0xbf4c4adb, v77
	v_fmac_f32_e32 v44, 0xbf59a7d5, v64
	v_mul_f32_e32 v144, 0x3f7ee86f, v82
	v_add_f32_e32 v50, v5, v50
	v_fmac_f32_e32 v51, 0x3f763a35, v79
	v_add_f32_e32 v43, v44, v43
	v_mov_b32_e32 v44, v144
	v_add_f32_e32 v50, v51, v50
	v_fmac_f32_e32 v135, 0xbeb8f4ab, v81
	v_fma_f32 v51, v59, s14, -v140
	v_fmac_f32_e32 v44, 0x3dbcf732, v66
	v_mul_f32_e32 v145, 0xbf2c7751, v84
	v_add_f32_e32 v50, v135, v50
	v_add_f32_e32 v51, v4, v51
	v_fma_f32 v135, v60, s10, -v141
	v_add_f32_e32 v43, v44, v43
	v_mov_b32_e32 v44, v145
	v_fmac_f32_e32 v136, 0xbf06c442, v83
	v_add_f32_e32 v51, v135, v51
	v_fma_f32 v135, v62, s11, -v142
	v_fmac_f32_e32 v44, 0x3f3d2fb0, v68
	v_mul_f32_e32 v146, 0xbe3c28d5, v86
	v_add_f32_e32 v50, v136, v50
	v_fmac_f32_e32 v137, 0x3f7ee86f, v85
	v_add_f32_e32 v51, v135, v51
	v_fma_f32 v135, v64, s13, -v143
	v_add_f32_e32 v43, v44, v43
	v_mov_b32_e32 v44, v146
	v_add_f32_e32 v50, v137, v50
	v_fmac_f32_e32 v138, 0xbf2c7751, v87
	v_add_f32_e32 v51, v135, v51
	v_fma_f32 v135, v66, s6, -v144
	v_fmac_f32_e32 v44, 0xbf7ba420, v70
	v_mul_f32_e32 v147, 0x3ee437d1, v76
	v_add_f32_e32 v50, v138, v50
	v_fmac_f32_e32 v139, 0xbe3c28d5, v89
	v_add_f32_e32 v51, v135, v51
	v_fma_f32 v135, v68, s15, -v145
	v_add_f32_e32 v44, v44, v43
	v_mov_b32_e32 v43, v147
	v_mul_f32_e32 v148, 0x3f65296c, v88
	v_add_f32_e32 v50, v139, v50
	v_add_f32_e32 v51, v135, v51
	v_fma_f32 v135, v70, s7, -v146
	v_fmac_f32_e32 v147, 0x3f65296c, v90
	v_add_f32_e32 v135, v135, v51
	v_add_f32_e32 v51, v147, v50
	v_fma_f32 v50, v72, s12, -v148
	v_add_f32_e32 v50, v50, v135
	v_mul_f32_e32 v135, 0xbe8c1d8e, v61
	v_add_f32_e32 v133, v133, v135
	v_mul_f32_e32 v135, 0xbf59a7d5, v63
	v_add_f32_e32 v134, v134, v135
	v_add_f32_e32 v133, v5, v133
	;; [unrolled: 1-line block ×3, first 2 shown]
	v_mul_f32_e32 v134, 0x3f3d2fb0, v65
	v_add_f32_e32 v127, v127, v134
	v_add_f32_e32 v127, v127, v133
	v_mul_f32_e32 v133, 0x3ee437d1, v67
	v_add_f32_e32 v128, v128, v133
	v_add_f32_e32 v127, v128, v127
	v_mul_f32_e32 v128, 0xbf7ba420, v69
	v_add_f32_e32 v128, v129, v128
	v_mul_f32_e32 v129, 0xbe8c1d8e, v59
	v_sub_f32_e32 v52, v129, v52
	v_mul_f32_e32 v129, 0xbf59a7d5, v60
	v_sub_f32_e32 v53, v129, v53
	v_add_f32_e32 v52, v4, v52
	v_add_f32_e32 v52, v53, v52
	v_mul_f32_e32 v53, 0x3f3d2fb0, v62
	v_sub_f32_e32 v53, v53, v121
	v_add_f32_e32 v52, v53, v52
	v_mul_f32_e32 v53, 0x3ee437d1, v64
	v_sub_f32_e32 v53, v53, v122
	;; [unrolled: 3-line block ×6, first 2 shown]
	v_add_f32_e32 v52, v121, v52
	v_mul_f32_e32 v121, 0x3dbcf732, v61
	v_add_f32_e32 v108, v108, v121
	v_mul_f32_e32 v121, 0xbf7ba420, v63
	v_add_f32_e32 v109, v109, v121
	v_add_f32_e32 v108, v5, v108
	;; [unrolled: 1-line block ×3, first 2 shown]
	v_mul_f32_e32 v109, 0xbe8c1d8e, v65
	v_add_f32_e32 v109, v112, v109
	v_add_f32_e32 v108, v109, v108
	v_mul_f32_e32 v109, 0x3f6eb680, v67
	v_add_f32_e32 v109, v113, v109
	v_add_f32_e32 v108, v109, v108
	v_mul_f32_e32 v109, 0x3ee437d1, v69
	v_add_f32_e32 v109, v115, v109
	v_mul_f32_e32 v112, 0x3dbcf732, v59
	;; [unrolled: 2-line block ×3, first 2 shown]
	v_mul_f32_e32 v113, 0xbf7ba420, v60
	v_add_f32_e32 v109, v117, v109
	v_sub_f32_e32 v54, v112, v54
	v_mul_f32_e32 v115, 0xbe8c1d8e, v62
	v_add_f32_e32 v108, v109, v108
	v_mul_f32_e32 v109, 0xbf1a4643, v74
	v_sub_f32_e32 v113, v113, v55
	v_add_f32_e32 v54, v4, v54
	v_mul_f32_e32 v117, 0x3f6eb680, v64
	v_add_f32_e32 v109, v119, v109
	v_add_f32_e32 v54, v113, v54
	v_sub_f32_e32 v107, v115, v107
	v_mul_f32_e32 v119, 0x3ee437d1, v66
	v_add_f32_e32 v108, v109, v108
	v_mul_f32_e32 v109, 0x3f3d2fb0, v76
	v_add_f32_e32 v54, v107, v54
	v_sub_f32_e32 v107, v117, v110
	v_add_f32_e32 v109, v120, v109
	v_mul_f32_e32 v120, 0xbf59a7d5, v68
	v_add_f32_e32 v54, v107, v54
	v_sub_f32_e32 v107, v119, v111
	v_mul_f32_e32 v112, 0xbf1a4643, v70
	v_add_f32_e32 v54, v107, v54
	v_sub_f32_e32 v107, v120, v114
	;; [unrolled: 3-line block ×3, first 2 shown]
	v_add_f32_e32 v54, v107, v54
	v_sub_f32_e32 v107, v121, v118
	v_add_f32_e32 v54, v107, v54
	v_mul_f32_e32 v107, 0xbf65296c, v77
	v_add_f32_e32 v55, v109, v108
	v_mov_b32_e32 v108, v107
	v_mul_f32_e32 v109, 0xbf4c4adb, v79
	v_fmac_f32_e32 v108, 0x3ee437d1, v61
	v_mov_b32_e32 v110, v109
	v_add_f32_e32 v108, v5, v108
	v_fmac_f32_e32 v110, 0xbf1a4643, v63
	v_add_f32_e32 v108, v110, v108
	v_mul_f32_e32 v110, 0x3e3c28d5, v81
	v_fmac_f32_e32 v43, 0xbf65296c, v90
	v_mov_b32_e32 v111, v110
	v_add_f32_e32 v43, v43, v42
	v_mov_b32_e32 v42, v148
	v_fmac_f32_e32 v111, 0xbf7ba420, v65
	v_fmac_f32_e32 v42, 0x3ee437d1, v72
	v_mul_f32_e32 v46, 0xbf7ba420, v61
	v_add_f32_e32 v108, v111, v108
	v_mul_f32_e32 v111, 0x3f763a35, v83
	v_add_f32_e32 v42, v42, v44
	v_mov_b32_e32 v44, v46
	v_mul_f32_e32 v47, 0x3f6eb680, v63
	v_mov_b32_e32 v112, v111
	v_fmac_f32_e32 v44, 0x3e3c28d5, v77
	v_mov_b32_e32 v45, v47
	v_fmac_f32_e32 v112, 0xbe8c1d8e, v67
	v_add_f32_e32 v44, v5, v44
	v_fmac_f32_e32 v45, 0xbeb8f4ab, v79
	v_mul_f32_e32 v48, 0xbf59a7d5, v65
	v_add_f32_e32 v108, v112, v108
	v_mul_f32_e32 v112, 0x3f2c7751, v85
	v_add_f32_e32 v44, v45, v44
	v_mov_b32_e32 v45, v48
	v_mov_b32_e32 v113, v112
	v_fmac_f32_e32 v45, 0x3f06c442, v81
	v_mul_f32_e32 v49, 0x3f3d2fb0, v67
	v_fmac_f32_e32 v113, 0x3f3d2fb0, v69
	v_mul_f32_e32 v116, 0xbf65296c, v73
	v_add_f32_e32 v44, v45, v44
	v_mov_b32_e32 v45, v49
	v_add_f32_e32 v108, v113, v108
	v_mul_f32_e32 v113, 0xbeb8f4ab, v87
	v_fma_f32 v117, v59, s12, -v116
	v_mul_f32_e32 v118, 0xbf4c4adb, v75
	v_add_f32_e32 v7, v5, v7
	v_add_f32_e32 v6, v4, v6
	v_fmac_f32_e32 v45, 0xbf2c7751, v83
	v_mul_f32_e32 v91, 0xbf1a4643, v69
	v_mov_b32_e32 v114, v113
	v_add_f32_e32 v117, v4, v117
	v_fma_f32 v119, v60, s14, -v118
	v_add_f32_e32 v7, v7, v17
	v_add_f32_e32 v6, v6, v16
	v_mul_f32_e32 v16, 0x3e3c28d5, v78
	v_add_f32_e32 v44, v45, v44
	v_mov_b32_e32 v45, v91
	v_fmac_f32_e32 v114, 0x3f6eb680, v71
	v_add_f32_e32 v117, v119, v117
	v_add_f32_e32 v17, v7, v19
	;; [unrolled: 1-line block ×3, first 2 shown]
	v_fma_f32 v7, v62, s7, -v16
	v_mul_f32_e32 v18, 0x3f763a35, v80
	v_fmac_f32_e32 v45, 0x3f4c4adb, v85
	v_mul_f32_e32 v92, 0x3ee437d1, v71
	v_add_f32_e32 v108, v114, v108
	v_mul_f32_e32 v114, 0xbf7ee86f, v89
	v_add_f32_e32 v7, v7, v117
	v_fma_f32 v19, v64, s10, -v18
	v_add_f32_e32 v44, v45, v44
	v_mov_b32_e32 v45, v92
	v_mov_b32_e32 v115, v114
	v_add_f32_e32 v7, v19, v7
	v_mul_f32_e32 v19, 0x3f2c7751, v82
	v_fmac_f32_e32 v45, 0xbf65296c, v87
	v_mul_f32_e32 v93, 0xbe8c1d8e, v74
	v_fmac_f32_e32 v115, 0x3dbcf732, v74
	v_fma_f32 v117, v66, s15, -v19
	v_add_f32_e32 v17, v17, v25
	v_add_f32_e32 v6, v6, v24
	v_mul_f32_e32 v25, 0xbeb8f4ab, v84
	v_add_f32_e32 v44, v45, v44
	v_mov_b32_e32 v45, v93
	v_add_f32_e32 v108, v115, v108
	v_mul_f32_e32 v115, 0xbf06c442, v90
	v_add_f32_e32 v117, v117, v7
	v_add_f32_e32 v24, v6, v26
	v_fma_f32 v6, v68, s11, -v25
	v_mul_f32_e32 v26, 0xbf7ee86f, v86
	v_fmac_f32_e32 v45, 0x3f763a35, v89
	v_mul_f32_e32 v94, 0xbe3c28d5, v73
	v_mov_b32_e32 v7, v115
	v_add_f32_e32 v17, v17, v27
	v_add_f32_e32 v6, v6, v117
	v_fma_f32 v27, v70, s6, -v26
	v_add_f32_e32 v44, v45, v44
	v_mov_b32_e32 v45, v94
	v_mul_f32_e32 v95, 0x3eb8f4ab, v75
	v_fmac_f32_e32 v7, 0xbf59a7d5, v76
	v_add_f32_e32 v6, v27, v6
	v_mul_f32_e32 v27, 0xbf06c442, v88
	v_fmac_f32_e32 v45, 0xbf7ba420, v59
	v_mov_b32_e32 v96, v95
	v_add_f32_e32 v7, v7, v108
	v_fma_f32 v108, v72, s13, -v27
	v_add_f32_e32 v45, v4, v45
	v_fmac_f32_e32 v96, 0x3f6eb680, v60
	v_add_f32_e32 v6, v108, v6
	v_mul_f32_e32 v108, 0xbf2c7751, v77
	v_add_f32_e32 v45, v96, v45
	v_mul_f32_e32 v96, 0xbf06c442, v78
	v_mov_b32_e32 v117, v108
	v_add_f32_e32 v24, v24, v28
	v_mul_f32_e32 v28, 0xbf7ee86f, v79
	v_mov_b32_e32 v97, v96
	v_fmac_f32_e32 v117, 0x3f3d2fb0, v61
	v_add_f32_e32 v17, v17, v29
	v_add_f32_e32 v24, v24, v30
	v_mov_b32_e32 v29, v28
	v_mul_f32_e32 v30, 0xbf4c4adb, v81
	v_fmac_f32_e32 v97, 0xbf59a7d5, v62
	v_add_f32_e32 v117, v5, v117
	v_add_f32_e32 v17, v17, v31
	v_fmac_f32_e32 v29, 0x3dbcf732, v63
	v_mov_b32_e32 v31, v30
	v_add_f32_e32 v45, v97, v45
	v_mul_f32_e32 v97, 0x3f2c7751, v80
	v_add_f32_e32 v29, v29, v117
	v_fmac_f32_e32 v31, 0xbf1a4643, v65
	v_mov_b32_e32 v98, v97
	v_add_f32_e32 v29, v31, v29
	v_mul_f32_e32 v31, 0xbe3c28d5, v83
	v_fmac_f32_e32 v98, 0x3f3d2fb0, v64
	v_mov_b32_e32 v117, v31
	v_add_f32_e32 v45, v98, v45
	v_mul_f32_e32 v98, 0xbf4c4adb, v82
	v_fmac_f32_e32 v117, 0xbf7ba420, v67
	v_mov_b32_e32 v99, v98
	v_fmac_f32_e32 v46, 0xbe3c28d5, v77
	v_add_f32_e32 v29, v117, v29
	v_mul_f32_e32 v117, 0x3f06c442, v85
	v_fmac_f32_e32 v99, 0xbf1a4643, v66
	v_add_f32_e32 v46, v5, v46
	v_fmac_f32_e32 v47, 0x3eb8f4ab, v79
	v_mov_b32_e32 v119, v117
	v_add_f32_e32 v24, v24, v32
	v_mul_f32_e32 v32, 0x3f763a35, v87
	v_add_f32_e32 v45, v99, v45
	v_mul_f32_e32 v99, 0x3f65296c, v84
	v_add_f32_e32 v46, v47, v46
	v_fmac_f32_e32 v48, 0xbf06c442, v81
	v_fma_f32 v47, v59, s7, -v94
	v_fmac_f32_e32 v119, 0xbf59a7d5, v69
	v_add_f32_e32 v17, v17, v33
	v_mov_b32_e32 v33, v32
	v_mov_b32_e32 v100, v99
	v_add_f32_e32 v46, v48, v46
	v_add_f32_e32 v47, v4, v47
	v_fma_f32 v48, v60, s11, -v95
	v_add_f32_e32 v29, v119, v29
	v_fmac_f32_e32 v33, 0xbe8c1d8e, v71
	v_fmac_f32_e32 v100, 0x3ee437d1, v68
	;; [unrolled: 1-line block ×3, first 2 shown]
	v_add_f32_e32 v47, v48, v47
	v_fma_f32 v48, v62, s13, -v96
	v_add_f32_e32 v29, v33, v29
	v_mul_f32_e32 v33, 0x3f65296c, v89
	v_add_f32_e32 v45, v100, v45
	v_mul_f32_e32 v100, 0xbf763a35, v86
	v_add_f32_e32 v46, v49, v46
	v_fmac_f32_e32 v91, 0xbf4c4adb, v85
	v_add_f32_e32 v47, v48, v47
	v_fma_f32 v48, v64, s15, -v97
	v_add_f32_e32 v24, v24, v34
	v_mov_b32_e32 v34, v33
	v_mov_b32_e32 v101, v100
	v_add_f32_e32 v46, v91, v46
	v_fmac_f32_e32 v92, 0x3f65296c, v87
	v_add_f32_e32 v47, v48, v47
	v_fma_f32 v48, v66, s14, -v98
	v_fmac_f32_e32 v34, 0x3ee437d1, v74
	v_fmac_f32_e32 v101, 0xbe8c1d8e, v70
	v_mul_f32_e32 v102, 0x3dbcf732, v76
	v_add_f32_e32 v46, v92, v46
	v_fmac_f32_e32 v93, 0xbf763a35, v89
	v_add_f32_e32 v47, v48, v47
	v_fma_f32 v48, v68, s12, -v99
	v_add_f32_e32 v17, v17, v35
	v_add_f32_e32 v29, v34, v29
	v_mul_f32_e32 v34, 0xbf2c7751, v73
	v_add_f32_e32 v101, v101, v45
	v_mov_b32_e32 v45, v102
	v_mul_f32_e32 v103, 0x3f7ee86f, v88
	v_add_f32_e32 v46, v93, v46
	v_add_f32_e32 v47, v48, v47
	v_fma_f32 v48, v70, s10, -v100
	v_fmac_f32_e32 v102, 0x3f7ee86f, v90
	v_fma_f32 v35, v59, s15, -v34
	v_add_f32_e32 v17, v17, v21
	v_add_f32_e32 v20, v24, v20
	v_mul_f32_e32 v21, 0xbf7ee86f, v75
	v_add_f32_e32 v48, v48, v47
	v_add_f32_e32 v47, v102, v46
	v_fma_f32 v46, v72, s6, -v103
	v_mul_f32_e32 v91, 0xbf06c442, v77
	v_add_f32_e32 v35, v4, v35
	v_add_f32_e32 v17, v17, v23
	;; [unrolled: 1-line block ×3, first 2 shown]
	v_fma_f32 v22, v60, s6, -v21
	v_mul_f32_e32 v23, 0xbf4c4adb, v78
	v_add_f32_e32 v46, v46, v48
	v_mov_b32_e32 v48, v91
	v_mul_f32_e32 v92, 0x3f65296c, v79
	v_add_f32_e32 v22, v22, v35
	v_fma_f32 v24, v62, s14, -v23
	v_fmac_f32_e32 v48, 0xbf59a7d5, v61
	v_mov_b32_e32 v49, v92
	v_add_f32_e32 v22, v24, v22
	v_mul_f32_e32 v24, 0xbe3c28d5, v80
	v_add_f32_e32 v48, v5, v48
	v_fmac_f32_e32 v49, 0x3ee437d1, v63
	v_mul_f32_e32 v93, 0xbf7ee86f, v81
	v_fma_f32 v35, v64, s7, -v24
	v_add_f32_e32 v12, v20, v12
	v_mul_f32_e32 v20, 0x3f06c442, v82
	v_add_f32_e32 v48, v49, v48
	v_mov_b32_e32 v49, v93
	v_add_f32_e32 v22, v35, v22
	v_add_f32_e32 v13, v17, v13
	;; [unrolled: 1-line block ×3, first 2 shown]
	v_fma_f32 v12, v66, s13, -v20
	v_fmac_f32_e32 v49, 0x3dbcf732, v65
	v_mul_f32_e32 v94, 0x3f4c4adb, v83
	v_add_f32_e32 v15, v13, v15
	v_add_f32_e32 v12, v12, v22
	v_mul_f32_e32 v22, 0x3f763a35, v84
	v_mul_f32_e32 v77, 0xbeb8f4ab, v77
	v_add_f32_e32 v8, v14, v8
	v_add_f32_e32 v48, v49, v48
	v_mov_b32_e32 v49, v94
	v_fma_f32 v13, v68, s10, -v22
	v_mul_f32_e32 v119, 0x3f65296c, v86
	v_add_f32_e32 v9, v15, v9
	v_add_f32_e32 v10, v8, v10
	v_mov_b32_e32 v8, v77
	v_mul_f32_e32 v79, 0xbf2c7751, v79
	v_fmac_f32_e32 v49, 0xbf1a4643, v67
	v_mul_f32_e32 v95, 0xbeb8f4ab, v85
	v_mul_f32_e32 v35, 0x3eb8f4ab, v90
	v_add_f32_e32 v12, v13, v12
	v_fma_f32 v13, v70, s12, -v119
	v_add_f32_e32 v11, v9, v11
	v_fmac_f32_e32 v8, 0x3f6eb680, v61
	v_mov_b32_e32 v9, v79
	v_add_f32_e32 v48, v49, v48
	v_mov_b32_e32 v49, v95
	v_add_f32_e32 v12, v13, v12
	;; [unrolled: 2-line block ×3, first 2 shown]
	v_fmac_f32_e32 v9, 0x3f3d2fb0, v63
	v_mul_f32_e32 v81, 0xbf65296c, v81
	v_fmac_f32_e32 v49, 0x3f6eb680, v69
	v_mul_f32_e32 v96, 0xbe3c28d5, v87
	v_fmac_f32_e32 v13, 0x3f6eb680, v76
	v_add_f32_e32 v8, v9, v8
	v_mov_b32_e32 v9, v81
	v_add_f32_e32 v48, v49, v48
	v_mov_b32_e32 v49, v96
	v_add_f32_e32 v13, v13, v29
	v_mul_f32_e32 v29, 0x3eb8f4ab, v88
	v_fmac_f32_e32 v9, 0x3ee437d1, v65
	v_mul_f32_e32 v83, 0xbf7ee86f, v83
	v_fmac_f32_e32 v49, 0xbf7ba420, v71
	v_mul_f32_e32 v97, 0x3f2c7751, v89
	v_fma_f32 v17, v72, s11, -v29
	v_add_f32_e32 v8, v9, v8
	v_mov_b32_e32 v9, v83
	v_add_f32_e32 v48, v49, v48
	v_mov_b32_e32 v49, v97
	v_add_f32_e32 v12, v17, v12
	v_fmac_f32_e32 v9, 0x3dbcf732, v67
	v_mul_f32_e32 v85, 0xbf763a35, v85
	v_fma_f32 v17, v61, s12, -v107
	v_fmac_f32_e32 v49, 0x3f3d2fb0, v74
	v_mul_f32_e32 v98, 0xbf06c442, v73
	v_add_f32_e32 v8, v9, v8
	v_mov_b32_e32 v9, v85
	v_add_f32_e32 v10, v10, v40
	v_add_f32_e32 v17, v5, v17
	v_fma_f32 v40, v63, s14, -v109
	v_fmac_f32_e32 v45, 0xbf7ee86f, v90
	v_add_f32_e32 v48, v49, v48
	v_fma_f32 v49, v59, s13, -v98
	v_mul_f32_e32 v99, 0x3f65296c, v75
	v_fmac_f32_e32 v9, 0xbe8c1d8e, v69
	v_mul_f32_e32 v87, 0xbf4c4adb, v87
	v_add_f32_e32 v17, v40, v17
	v_fma_f32 v40, v65, s7, -v110
	v_add_f32_e32 v45, v45, v44
	v_mov_b32_e32 v44, v103
	v_add_f32_e32 v49, v4, v49
	v_fma_f32 v100, v60, s12, -v99
	v_add_f32_e32 v8, v9, v8
	v_mov_b32_e32 v9, v87
	v_add_f32_e32 v17, v40, v17
	v_fma_f32 v40, v67, s10, -v111
	v_fmac_f32_e32 v44, 0x3dbcf732, v72
	v_add_f32_e32 v49, v100, v49
	v_mul_f32_e32 v100, 0xbf7ee86f, v78
	v_fmac_f32_e32 v9, 0xbf1a4643, v71
	v_mul_f32_e32 v89, 0xbf06c442, v89
	v_add_f32_e32 v17, v40, v17
	v_fma_f32 v40, v69, s15, -v112
	v_add_f32_e32 v44, v44, v101
	v_fma_f32 v101, v62, s6, -v100
	v_add_f32_e32 v8, v9, v8
	v_mov_b32_e32 v9, v89
	v_add_f32_e32 v17, v40, v17
	v_fma_f32 v40, v71, s11, -v113
	v_add_f32_e32 v49, v101, v49
	v_mul_f32_e32 v101, 0x3f4c4adb, v80
	v_fmac_f32_e32 v9, 0xbf59a7d5, v74
	v_mul_f32_e32 v73, 0xbeb8f4ab, v73
	v_add_f32_e32 v17, v40, v17
	v_fma_f32 v40, v74, s6, -v114
	v_fma_f32 v102, v64, s14, -v101
	v_add_f32_e32 v8, v9, v8
	v_fma_f32 v9, v59, s11, -v73
	v_mul_f32_e32 v75, 0xbf2c7751, v75
	v_add_f32_e32 v17, v40, v17
	v_fma_f32 v40, v76, s13, -v115
	v_fmac_f32_e32 v116, 0x3ee437d1, v59
	v_add_f32_e32 v49, v102, v49
	v_mul_f32_e32 v102, 0xbeb8f4ab, v82
	v_add_f32_e32 v9, v4, v9
	v_fma_f32 v14, v60, s15, -v75
	v_mul_f32_e32 v78, 0xbf65296c, v78
	v_add_f32_e32 v17, v40, v17
	v_add_f32_e32 v40, v4, v116
	v_fmac_f32_e32 v118, 0xbf1a4643, v60
	v_fma_f32 v103, v66, s11, -v102
	v_add_f32_e32 v9, v14, v9
	v_fma_f32 v14, v62, s12, -v78
	v_mul_f32_e32 v80, 0xbf7ee86f, v80
	v_add_f32_e32 v40, v118, v40
	v_fmac_f32_e32 v16, 0xbf7ba420, v62
	v_add_f32_e32 v49, v103, v49
	v_mul_f32_e32 v103, 0xbe3c28d5, v84
	v_add_f32_e32 v9, v14, v9
	v_fma_f32 v14, v64, s6, -v80
	v_mul_f32_e32 v82, 0xbf763a35, v82
	v_add_f32_e32 v16, v16, v40
	v_fmac_f32_e32 v18, 0xbe8c1d8e, v64
	v_fma_f32 v104, v68, s7, -v103
	v_add_f32_e32 v9, v14, v9
	v_fma_f32 v14, v66, s10, -v82
	v_mul_f32_e32 v84, 0xbf4c4adb, v84
	v_add_f32_e32 v16, v18, v16
	v_fmac_f32_e32 v19, 0x3f3d2fb0, v66
	v_fma_f32 v18, v61, s15, -v108
	v_add_f32_e32 v49, v104, v49
	v_mul_f32_e32 v104, 0x3f2c7751, v86
	v_add_f32_e32 v9, v14, v9
	v_fma_f32 v14, v68, s14, -v84
	v_mul_f32_e32 v86, 0xbf06c442, v86
	v_add_f32_e32 v16, v19, v16
	v_add_f32_e32 v18, v5, v18
	v_fma_f32 v19, v63, s6, -v28
	v_mul_f32_e32 v106, 0xbf763a35, v90
	v_mul_f32_e32 v90, 0xbe3c28d5, v90
	v_add_f32_e32 v9, v14, v9
	v_fma_f32 v14, v70, s13, -v86
	v_add_f32_e32 v18, v19, v18
	v_fma_f32 v19, v65, s14, -v30
	v_fma_f32 v105, v70, s15, -v104
	v_add_f32_e32 v14, v14, v9
	v_mov_b32_e32 v9, v90
	v_add_f32_e32 v18, v19, v18
	v_fma_f32 v19, v67, s7, -v31
	v_add_f32_e32 v149, v105, v49
	v_mul_f32_e32 v105, 0xbf763a35, v88
	v_fmac_f32_e32 v9, 0xbf7ba420, v76
	v_mul_f32_e32 v88, 0xbe3c28d5, v88
	v_add_f32_e32 v18, v19, v18
	v_fma_f32 v19, v69, s13, -v117
	v_add_f32_e32 v9, v9, v8
	v_fma_f32 v8, v72, s7, -v88
	;; [unrolled: 2-line block ×7, first 2 shown]
	v_fmac_f32_e32 v34, 0x3f3d2fb0, v59
	v_add_f32_e32 v14, v15, v14
	v_fma_f32 v15, v65, s6, -v93
	v_add_f32_e32 v19, v19, v18
	v_add_f32_e32 v18, v4, v34
	v_fmac_f32_e32 v21, 0x3dbcf732, v60
	v_add_f32_e32 v14, v15, v14
	v_fma_f32 v15, v67, s14, -v94
	v_add_f32_e32 v18, v21, v18
	v_fmac_f32_e32 v23, 0xbf1a4643, v62
	v_add_f32_e32 v14, v15, v14
	v_fma_f32 v15, v69, s11, -v95
	;; [unrolled: 4-line block ×4, first 2 shown]
	v_add_f32_e32 v18, v20, v18
	v_fma_f32 v20, v61, s11, -v77
	v_add_f32_e32 v14, v15, v14
	v_fma_f32 v15, v76, s10, -v106
	v_fmac_f32_e32 v98, 0xbf59a7d5, v59
	v_add_f32_e32 v5, v5, v20
	v_fma_f32 v20, v63, s15, -v79
	v_fmac_f32_e32 v73, 0x3f6eb680, v59
	v_add_f32_e32 v15, v15, v14
	v_add_f32_e32 v14, v4, v98
	v_fmac_f32_e32 v99, 0x3ee437d1, v60
	v_add_f32_e32 v5, v20, v5
	v_fma_f32 v20, v65, s12, -v81
	v_add_f32_e32 v4, v4, v73
	v_fmac_f32_e32 v75, 0x3f3d2fb0, v60
	v_add_f32_e32 v127, v128, v127
	v_mul_f32_e32 v128, 0x3dbcf732, v71
	v_add_f32_e32 v14, v99, v14
	v_fmac_f32_e32 v100, 0x3dbcf732, v62
	v_add_f32_e32 v5, v20, v5
	v_fma_f32 v20, v67, s6, -v83
	v_add_f32_e32 v4, v75, v4
	v_fmac_f32_e32 v78, 0x3ee437d1, v62
	v_add_f32_e32 v128, v130, v128
	v_add_f32_e32 v14, v100, v14
	v_fmac_f32_e32 v101, 0xbf1a4643, v64
	v_add_f32_e32 v5, v20, v5
	v_fma_f32 v20, v69, s10, -v85
	v_add_f32_e32 v4, v78, v4
	v_fmac_f32_e32 v80, 0x3dbcf732, v64
	v_add_f32_e32 v127, v128, v127
	v_mul_f32_e32 v128, 0x3f6eb680, v74
	v_add_f32_e32 v14, v101, v14
	v_fmac_f32_e32 v102, 0x3f6eb680, v66
	v_add_f32_e32 v5, v20, v5
	v_fma_f32 v20, v71, s14, -v87
	v_add_f32_e32 v4, v80, v4
	v_fmac_f32_e32 v82, 0xbe8c1d8e, v66
	v_mov_b32_e32 v49, v106
	v_add_f32_e32 v128, v131, v128
	v_add_f32_e32 v14, v102, v14
	v_fmac_f32_e32 v103, 0xbf7ba420, v68
	v_fmac_f32_e32 v25, 0x3f6eb680, v68
	v_fmac_f32_e32 v22, 0xbe8c1d8e, v68
	v_add_f32_e32 v5, v20, v5
	v_fma_f32 v20, v74, s13, -v89
	v_add_f32_e32 v4, v82, v4
	v_fmac_f32_e32 v84, 0xbf1a4643, v68
	v_fmac_f32_e32 v49, 0xbe8c1d8e, v76
	v_add_f32_e32 v127, v128, v127
	v_mul_f32_e32 v128, 0xbf1a4643, v76
	v_add_f32_e32 v14, v103, v14
	v_fmac_f32_e32 v104, 0x3f3d2fb0, v70
	v_add_f32_e32 v16, v25, v16
	v_fmac_f32_e32 v26, 0x3dbcf732, v70
	;; [unrolled: 2-line block ×3, first 2 shown]
	v_add_f32_e32 v5, v20, v5
	v_fma_f32 v20, v76, s7, -v90
	v_add_f32_e32 v4, v84, v4
	v_fmac_f32_e32 v86, 0xbf59a7d5, v70
	v_add_f32_e32 v49, v49, v48
	v_fma_f32 v48, v72, s10, -v105
	v_add_f32_e32 v128, v132, v128
	v_add_f32_e32 v11, v11, v41
	;; [unrolled: 1-line block ×3, first 2 shown]
	v_fmac_f32_e32 v105, 0xbe8c1d8e, v72
	v_add_f32_e32 v16, v26, v16
	v_fmac_f32_e32 v27, 0xbf59a7d5, v72
	v_add_f32_e32 v18, v119, v18
	;; [unrolled: 2-line block ×3, first 2 shown]
	v_add_f32_e32 v4, v86, v4
	v_fmac_f32_e32 v88, 0xbf7ba420, v72
	v_lshl_add_u32 v20, v36, 7, v56
	v_add_f32_e32 v48, v48, v149
	v_add_f32_e32 v53, v128, v127
	;; [unrolled: 1-line block ×6, first 2 shown]
	ds_write2_b64 v20, v[10:11], v[8:9] offset1:1
	ds_write2_b64 v20, v[12:13], v[6:7] offset0:2 offset1:3
	ds_write2_b64 v20, v[54:55], v[52:53] offset0:4 offset1:5
	;; [unrolled: 1-line block ×7, first 2 shown]
	ds_write_b64 v20, v[4:5] offset:128
.LBB0_13:
	s_or_b64 exec, exec, s[4:5]
	s_movk_i32 s4, 0xf1
	v_mul_lo_u16_sdwa v31, v36, s4 dst_sel:DWORD dst_unused:UNUSED_PAD src0_sel:BYTE_0 src1_sel:DWORD
	v_lshrrev_b16_e32 v48, 12, v31
	v_add_u16_e32 v28, 0x77, v36
	v_mul_lo_u16_e32 v8, 17, v48
	v_mul_lo_u16_sdwa v29, v28, s4 dst_sel:DWORD dst_unused:UNUSED_PAD src0_sel:BYTE_0 src1_sel:DWORD
	v_sub_u16_e32 v8, v36, v8
	v_mov_b32_e32 v30, 3
	v_lshrrev_b16_e32 v50, 12, v29
	v_lshlrev_b32_sdwa v49, v30, v8 dst_sel:DWORD dst_unused:UNUSED_PAD src0_sel:DWORD src1_sel:BYTE_0
	v_mul_lo_u16_e32 v8, 17, v50
	v_add_u32_e32 v4, 0xee, v36
	v_sub_u16_e32 v8, v28, v8
	s_mov_b32 s4, 0xf0f1
	v_lshlrev_b32_sdwa v51, v30, v8 dst_sel:DWORD dst_unused:UNUSED_PAD src0_sel:DWORD src1_sel:BYTE_0
	v_mul_u32_u24_sdwa v8, v4, s4 dst_sel:DWORD dst_unused:UNUSED_PAD src0_sel:WORD_0 src1_sel:DWORD
	v_lshrrev_b32_e32 v52, 20, v8
	v_mul_lo_u16_e32 v8, 17, v52
	v_add_u32_e32 v5, 0x165, v36
	v_sub_u16_e32 v4, v4, v8
	v_lshlrev_b32_e32 v53, 3, v4
	v_mul_u32_u24_sdwa v4, v5, s4 dst_sel:DWORD dst_unused:UNUSED_PAD src0_sel:WORD_0 src1_sel:DWORD
	v_lshrrev_b32_e32 v54, 20, v4
	v_mul_lo_u16_e32 v4, 17, v54
	v_add_u32_e32 v6, 0x1dc, v36
	v_sub_u16_e32 v4, v5, v4
	v_lshlrev_b32_e32 v55, 3, v4
	v_mul_u32_u24_sdwa v4, v6, s4 dst_sel:DWORD dst_unused:UNUSED_PAD src0_sel:WORD_0 src1_sel:DWORD
	v_lshrrev_b32_e32 v59, 20, v4
	v_mul_lo_u16_e32 v4, 17, v59
	v_sub_u16_e32 v4, v6, v4
	v_lshlrev_b32_e32 v60, 3, v4
	s_waitcnt lgkmcnt(0)
	s_barrier
	v_add_u32_e32 v7, 0x253, v36
	global_load_dwordx2 v[32:33], v49, s[8:9]
	global_load_dwordx2 v[34:35], v51, s[8:9]
	;; [unrolled: 1-line block ×5, first 2 shown]
	v_mul_u32_u24_sdwa v4, v7, s4 dst_sel:DWORD dst_unused:UNUSED_PAD src0_sel:WORD_0 src1_sel:DWORD
	v_lshrrev_b32_e32 v61, 20, v4
	v_mul_lo_u16_e32 v4, 17, v61
	v_sub_u16_e32 v4, v7, v4
	v_lshlrev_b32_e32 v62, 3, v4
	global_load_dwordx2 v[46:47], v62, s[8:9]
	v_add_u32_e32 v12, 0x1400, v56
	v_add_u32_e32 v20, 0x400, v56
	;; [unrolled: 1-line block ×3, first 2 shown]
	ds_read2_b64 v[4:7], v56 offset1:119
	ds_read2_b64 v[8:11], v58 offset0:56 offset1:175
	ds_read2_b64 v[12:15], v12 offset0:74 offset1:193
	;; [unrolled: 1-line block ×5, first 2 shown]
	s_waitcnt vmcnt(0) lgkmcnt(0)
	s_barrier
	s_movk_i32 s4, 0x55
	v_cmp_gt_u32_e32 vcc, s4, v36
	v_mul_f32_e32 v58, v33, v13
	v_mul_f32_e32 v63, v35, v15
	;; [unrolled: 1-line block ×9, first 2 shown]
	v_fma_f32 v14, v34, v14, -v63
	v_fmac_f32_e32 v41, v40, v9
	v_fma_f32 v9, v42, v10, -v65
	v_fma_f32 v10, v44, v24, -v66
	v_mul_f32_e32 v45, v45, v24
	v_fma_f32 v12, v32, v12, -v58
	v_fmac_f32_e32 v33, v32, v13
	v_sub_f32_e32 v14, v6, v14
	v_sub_f32_e32 v24, v16, v10
	v_fmac_f32_e32 v35, v34, v15
	v_sub_f32_e32 v12, v4, v12
	v_sub_f32_e32 v13, v5, v33
	v_fma_f32 v34, v6, 2.0, -v14
	v_fma_f32 v6, v16, 2.0, -v24
	v_mul_u32_u24_e32 v16, 0x110, v48
	v_fma_f32 v32, v4, 2.0, -v12
	v_fma_f32 v33, v5, 2.0, -v13
	v_add3_u32 v16, 0, v16, v49
	v_sub_f32_e32 v15, v7, v35
	ds_write2_b64 v16, v[32:33], v[12:13] offset1:17
	v_mul_u32_u24_e32 v12, 0x110, v50
	v_mul_f32_e32 v67, v27, v47
	v_mul_f32_e32 v47, v26, v47
	v_fma_f32 v8, v40, v8, -v64
	v_fma_f32 v35, v7, 2.0, -v15
	v_add3_u32 v12, 0, v12, v51
	v_fmac_f32_e32 v43, v42, v11
	v_fma_f32 v11, v26, v46, -v67
	v_fmac_f32_e32 v47, v27, v46
	v_sub_f32_e32 v26, v20, v8
	v_sub_f32_e32 v27, v21, v41
	ds_write2_b64 v12, v[34:35], v[14:15] offset1:17
	v_mul_u32_u24_e32 v12, 0x110, v52
	v_fma_f32 v20, v20, 2.0, -v26
	v_fma_f32 v21, v21, 2.0, -v27
	v_add3_u32 v12, 0, v12, v53
	v_sub_f32_e32 v4, v22, v9
	v_sub_f32_e32 v5, v23, v43
	ds_write2_b64 v12, v[20:21], v[26:27] offset1:17
	v_mul_u32_u24_e32 v12, 0x110, v54
	v_fmac_f32_e32 v45, v44, v25
	v_fma_f32 v22, v22, 2.0, -v4
	v_fma_f32 v23, v23, 2.0, -v5
	v_add3_u32 v12, 0, v12, v55
	v_sub_f32_e32 v25, v17, v45
	ds_write2_b64 v12, v[22:23], v[4:5] offset1:17
	v_mul_u32_u24_e32 v12, 0x110, v59
	v_fma_f32 v7, v17, 2.0, -v25
	v_add3_u32 v12, 0, v12, v60
	v_sub_f32_e32 v10, v18, v11
	v_sub_f32_e32 v11, v19, v47
	ds_write2_b64 v12, v[6:7], v[24:25] offset1:17
	v_mul_u32_u24_e32 v12, 0x110, v61
	v_fma_f32 v8, v18, 2.0, -v10
	v_fma_f32 v9, v19, 2.0, -v11
	v_add3_u32 v12, 0, v12, v62
	ds_write2_b64 v12, v[8:9], v[10:11] offset1:17
	s_waitcnt lgkmcnt(0)
	s_barrier
	ds_read2_b64 v[12:15], v56 offset1:204
	ds_read2_b64 v[20:23], v57 offset0:24 offset1:228
	ds_read2_b64 v[16:19], v37 offset0:48 offset1:252
	ds_read_b64 v[26:27], v56 offset:9792
	s_and_saveexec_b64 s[4:5], vcc
	s_cbranch_execz .LBB0_15
; %bb.14:
	v_add_u32_e32 v0, 0x300, v56
	ds_read2_b64 v[4:7], v0 offset0:23 offset1:227
	v_add_u32_e32 v0, 0x1000, v56
	ds_read2_b32 v[24:25], v0 offset0:30 offset1:31
	v_add_u32_e32 v0, 0x1600, v56
	ds_read2_b64 v[8:11], v0 offset0:27 offset1:231
	v_add_u32_e32 v0, 0x2200, v56
	ds_read2_b64 v[0:3], v0 offset0:51 offset1:255
.LBB0_15:
	s_or_b64 exec, exec, s[4:5]
	v_lshrrev_b16_e32 v37, 13, v31
	v_mul_lo_u16_e32 v31, 34, v37
	v_sub_u16_e32 v48, v36, v31
	v_mov_b32_e32 v31, 6
	v_mul_u32_u24_sdwa v32, v48, v31 dst_sel:DWORD dst_unused:UNUSED_PAD src0_sel:BYTE_0 src1_sel:DWORD
	v_lshlrev_b32_e32 v49, 3, v32
	global_load_dwordx4 v[32:35], v49, s[8:9] offset:136
	global_load_dwordx4 v[40:43], v49, s[8:9] offset:152
	;; [unrolled: 1-line block ×3, first 2 shown]
	s_mov_b32 s6, 0x3f5ff5aa
	s_mov_b32 s7, 0x3f3bfb3b
	;; [unrolled: 1-line block ×4, first 2 shown]
	v_lshlrev_b32_sdwa v30, v30, v48 dst_sel:DWORD dst_unused:UNUSED_PAD src0_sel:DWORD src1_sel:BYTE_0
	s_waitcnt vmcnt(0) lgkmcnt(0)
	s_barrier
	v_mul_f32_e32 v49, v33, v15
	v_mul_f32_e32 v33, v33, v14
	;; [unrolled: 1-line block ×12, first 2 shown]
	v_fma_f32 v14, v32, v14, -v49
	v_fmac_f32_e32 v33, v32, v15
	v_fma_f32 v15, v34, v20, -v50
	v_fmac_f32_e32 v35, v34, v21
	v_fmac_f32_e32 v43, v42, v17
	v_fma_f32 v17, v44, v18, -v53
	v_fmac_f32_e32 v45, v44, v19
	v_fma_f32 v18, v46, v26, -v54
	;; [unrolled: 2-line block ×4, first 2 shown]
	v_add_f32_e32 v19, v14, v18
	v_add_f32_e32 v21, v33, v47
	;; [unrolled: 1-line block ×4, first 2 shown]
	v_sub_f32_e32 v14, v14, v18
	v_sub_f32_e32 v18, v33, v47
	;; [unrolled: 1-line block ×4, first 2 shown]
	v_add_f32_e32 v26, v20, v16
	v_add_f32_e32 v27, v41, v43
	v_sub_f32_e32 v16, v16, v20
	v_sub_f32_e32 v20, v43, v41
	v_add_f32_e32 v32, v22, v19
	v_add_f32_e32 v33, v23, v21
	v_sub_f32_e32 v34, v22, v19
	v_sub_f32_e32 v35, v23, v21
	;; [unrolled: 1-line block ×6, first 2 shown]
	v_add_f32_e32 v40, v16, v15
	v_add_f32_e32 v41, v20, v17
	v_sub_f32_e32 v42, v16, v15
	v_sub_f32_e32 v43, v20, v17
	v_add_f32_e32 v26, v26, v32
	v_add_f32_e32 v27, v27, v33
	v_sub_f32_e32 v16, v14, v16
	v_sub_f32_e32 v20, v18, v20
	;; [unrolled: 1-line block ×4, first 2 shown]
	v_add_f32_e32 v14, v40, v14
	v_add_f32_e32 v18, v41, v18
	v_mul_f32_e32 v19, 0x3f4a47b2, v19
	v_mul_f32_e32 v21, 0x3f4a47b2, v21
	;; [unrolled: 1-line block ×6, first 2 shown]
	v_add_f32_e32 v12, v26, v12
	v_add_f32_e32 v13, v27, v13
	v_mul_f32_e32 v42, 0x3f5ff5aa, v15
	v_mul_f32_e32 v43, 0x3f5ff5aa, v17
	v_fma_f32 v32, v34, s7, -v32
	v_fma_f32 v33, v35, s7, -v33
	v_fma_f32 v34, v34, s10, -v19
	v_fmac_f32_e32 v19, 0x3d64c772, v22
	v_fma_f32 v22, v35, s10, -v21
	v_fmac_f32_e32 v21, 0x3d64c772, v23
	v_fma_f32 v23, v15, s6, -v40
	v_fma_f32 v35, v17, s6, -v41
	v_mov_b32_e32 v15, v12
	v_mov_b32_e32 v17, v13
	v_fmac_f32_e32 v15, 0xbf955555, v26
	v_fmac_f32_e32 v17, 0xbf955555, v27
	v_fma_f32 v27, v20, s11, -v43
	v_fmac_f32_e32 v40, 0x3eae86e6, v16
	v_fmac_f32_e32 v41, 0x3eae86e6, v20
	v_add_f32_e32 v20, v32, v15
	v_add_f32_e32 v32, v34, v15
	v_fmac_f32_e32 v27, 0x3ee1c552, v18
	v_fma_f32 v26, v16, s11, -v42
	v_add_f32_e32 v42, v19, v15
	v_add_f32_e32 v43, v21, v17
	;; [unrolled: 1-line block ×4, first 2 shown]
	v_fmac_f32_e32 v40, 0x3ee1c552, v14
	v_fmac_f32_e32 v41, 0x3ee1c552, v18
	v_add_f32_e32 v16, v27, v32
	v_sub_f32_e32 v22, v32, v27
	v_mul_u32_u24_e32 v32, 0x770, v37
	v_fmac_f32_e32 v23, 0x3ee1c552, v14
	v_fmac_f32_e32 v35, 0x3ee1c552, v18
	;; [unrolled: 1-line block ×3, first 2 shown]
	v_add_f32_e32 v14, v41, v42
	v_sub_f32_e32 v15, v43, v40
	v_add3_u32 v30, 0, v32, v30
	v_sub_f32_e32 v17, v33, v26
	v_sub_f32_e32 v18, v20, v35
	v_add_f32_e32 v19, v23, v21
	v_add_f32_e32 v20, v35, v20
	v_sub_f32_e32 v21, v21, v23
	v_add_f32_e32 v23, v26, v33
	v_sub_f32_e32 v26, v42, v41
	v_add_f32_e32 v27, v40, v43
	ds_write2_b64 v30, v[12:13], v[14:15] offset1:34
	ds_write2_b64 v30, v[16:17], v[18:19] offset0:68 offset1:102
	ds_write2_b64 v30, v[20:21], v[22:23] offset0:136 offset1:170
	ds_write_b64 v30, v[26:27] offset:1632
	s_and_saveexec_b64 s[4:5], vcc
	s_cbranch_execz .LBB0_17
; %bb.16:
	v_lshrrev_b16_e32 v26, 13, v29
	v_mul_lo_u16_e32 v12, 34, v26
	v_sub_u16_e32 v27, v28, v12
	v_mul_u32_u24_sdwa v12, v27, v31 dst_sel:DWORD dst_unused:UNUSED_PAD src0_sel:BYTE_0 src1_sel:DWORD
	v_lshlrev_b32_e32 v28, 3, v12
	global_load_dwordx4 v[12:15], v28, s[8:9] offset:136
	global_load_dwordx4 v[16:19], v28, s[8:9] offset:168
	;; [unrolled: 1-line block ×3, first 2 shown]
	s_waitcnt vmcnt(2)
	v_mul_f32_e32 v28, v7, v13
	s_waitcnt vmcnt(1)
	v_mul_f32_e32 v29, v3, v19
	;; [unrolled: 2-line block ×3, first 2 shown]
	v_mul_f32_e32 v31, v9, v21
	v_mul_f32_e32 v32, v25, v15
	v_mul_f32_e32 v33, v1, v17
	v_mul_f32_e32 v19, v2, v19
	v_mul_f32_e32 v13, v6, v13
	v_mul_f32_e32 v21, v8, v21
	v_mul_f32_e32 v23, v10, v23
	v_mul_f32_e32 v17, v0, v17
	v_mul_f32_e32 v15, v24, v15
	v_fma_f32 v6, v6, v12, -v28
	v_fma_f32 v2, v2, v18, -v29
	;; [unrolled: 1-line block ×4, first 2 shown]
	v_fmac_f32_e32 v19, v3, v18
	v_fmac_f32_e32 v13, v7, v12
	v_fmac_f32_e32 v21, v9, v20
	v_fmac_f32_e32 v23, v11, v22
	v_fma_f32 v10, v10, v22, -v30
	v_fma_f32 v8, v8, v20, -v31
	v_fmac_f32_e32 v17, v1, v16
	v_fmac_f32_e32 v15, v25, v14
	v_sub_f32_e32 v1, v6, v2
	v_sub_f32_e32 v7, v24, v0
	v_add_f32_e32 v9, v13, v19
	v_add_f32_e32 v11, v21, v23
	;; [unrolled: 1-line block ×4, first 2 shown]
	v_sub_f32_e32 v3, v10, v8
	v_add_f32_e32 v12, v15, v17
	v_add_f32_e32 v6, v8, v10
	v_sub_f32_e32 v10, v23, v21
	v_sub_f32_e32 v16, v9, v11
	v_add_f32_e32 v21, v0, v2
	v_sub_f32_e32 v8, v13, v19
	v_sub_f32_e32 v13, v15, v17
	;; [unrolled: 1-line block ×3, first 2 shown]
	v_add_f32_e32 v18, v12, v9
	v_sub_f32_e32 v19, v2, v6
	v_sub_f32_e32 v20, v6, v0
	;; [unrolled: 1-line block ×4, first 2 shown]
	v_mul_f32_e32 v2, 0x3f4a47b2, v16
	v_add_f32_e32 v6, v6, v21
	v_sub_f32_e32 v14, v1, v3
	v_sub_f32_e32 v15, v3, v7
	v_add_f32_e32 v3, v3, v7
	v_mov_b32_e32 v25, v2
	v_add_f32_e32 v0, v4, v6
	v_sub_f32_e32 v23, v10, v13
	v_sub_f32_e32 v7, v7, v1
	v_mul_f32_e32 v15, 0xbf08b237, v15
	v_add_f32_e32 v24, v3, v1
	v_mul_f32_e32 v16, 0x3d64c772, v17
	v_add_f32_e32 v3, v11, v18
	v_mul_f32_e32 v11, 0x3f4a47b2, v19
	v_fmac_f32_e32 v25, 0x3d64c772, v17
	v_mov_b32_e32 v17, v0
	v_mul_f32_e32 v19, 0xbf08b237, v23
	v_mul_f32_e32 v21, 0x3f5ff5aa, v7
	v_mov_b32_e32 v23, v15
	v_add_f32_e32 v1, v5, v3
	v_fmac_f32_e32 v17, 0xbf955555, v6
	v_fma_f32 v4, v12, s10, -v11
	v_sub_f32_e32 v6, v13, v8
	v_sub_f32_e32 v22, v8, v10
	v_add_f32_e32 v10, v10, v13
	v_mul_f32_e32 v18, 0x3d64c772, v20
	v_mov_b32_e32 v5, v11
	v_mov_b32_e32 v28, v19
	v_fma_f32 v21, v14, s11, -v21
	v_fmac_f32_e32 v23, 0x3eae86e6, v14
	v_mov_b32_e32 v14, v1
	v_add_f32_e32 v30, v4, v17
	v_mul_f32_e32 v4, 0x3f5ff5aa, v6
	v_add_f32_e32 v10, v10, v8
	v_fma_f32 v2, v9, s10, -v2
	v_fmac_f32_e32 v5, 0x3d64c772, v20
	v_fmac_f32_e32 v28, 0x3eae86e6, v22
	;; [unrolled: 1-line block ×3, first 2 shown]
	v_fma_f32 v13, v22, s11, -v4
	v_fma_f32 v8, v9, s7, -v16
	;; [unrolled: 1-line block ×5, first 2 shown]
	v_mov_b32_e32 v15, 3
	v_fmac_f32_e32 v23, 0x3ee1c552, v24
	v_fmac_f32_e32 v28, 0x3ee1c552, v10
	v_add_f32_e32 v20, v25, v14
	v_add_f32_e32 v25, v5, v17
	;; [unrolled: 1-line block ×3, first 2 shown]
	v_fmac_f32_e32 v13, 0x3ee1c552, v10
	v_add_f32_e32 v8, v8, v14
	v_fmac_f32_e32 v9, 0x3ee1c552, v24
	v_fmac_f32_e32 v11, 0x3ee1c552, v10
	v_add_f32_e32 v10, v6, v17
	v_mul_u32_u24_e32 v14, 0x770, v26
	v_lshlrev_b32_sdwa v15, v15, v27 dst_sel:DWORD dst_unused:UNUSED_PAD src0_sel:DWORD src1_sel:BYTE_0
	v_fmac_f32_e32 v21, 0x3ee1c552, v24
	v_sub_f32_e32 v4, v30, v13
	v_sub_f32_e32 v7, v8, v9
	v_add_f32_e32 v6, v11, v10
	v_add_f32_e32 v9, v9, v8
	v_sub_f32_e32 v8, v10, v11
	v_add_f32_e32 v10, v13, v30
	v_sub_f32_e32 v13, v20, v23
	v_add_f32_e32 v12, v28, v25
	v_add3_u32 v14, 0, v14, v15
	v_add_f32_e32 v3, v23, v20
	v_sub_f32_e32 v2, v25, v28
	v_add_f32_e32 v5, v21, v29
	v_sub_f32_e32 v11, v29, v21
	ds_write2_b64 v14, v[0:1], v[12:13] offset1:34
	ds_write2_b64 v14, v[10:11], v[8:9] offset0:68 offset1:102
	ds_write2_b64 v14, v[6:7], v[4:5] offset0:136 offset1:170
	ds_write_b64 v14, v[2:3] offset:1632
.LBB0_17:
	s_or_b64 exec, exec, s[4:5]
	v_mul_u32_u24_e32 v0, 5, v36
	v_lshlrev_b32_e32 v8, 3, v0
	v_mov_b32_e32 v9, s9
	v_add_co_u32_e32 v12, vcc, s8, v8
	s_movk_i32 s5, 0x1000
	v_addc_co_u32_e32 v13, vcc, 0, v9, vcc
	s_waitcnt lgkmcnt(0)
	s_barrier
	global_load_dwordx4 v[0:3], v8, s[8:9] offset:1768
	global_load_dwordx4 v[4:7], v8, s[8:9] offset:1784
	global_load_dwordx2 v[44:45], v8, s[8:9] offset:1800
	v_add_co_u32_e32 v8, vcc, s5, v12
	v_addc_co_u32_e32 v9, vcc, 0, v13, vcc
	global_load_dwordx4 v[8:11], v[8:9], off offset:2432
	s_movk_i32 s4, 0x1980
	v_add_co_u32_e32 v16, vcc, s4, v12
	v_addc_co_u32_e32 v17, vcc, 0, v13, vcc
	global_load_dwordx4 v[12:15], v[16:17], off offset:16
	global_load_dwordx2 v[46:47], v[16:17], off offset:32
	v_add_u32_e32 v48, 0x400, v56
	ds_read2_b64 v[16:19], v56 offset1:119
	v_add_u32_e32 v49, 0xc00, v56
	v_add_u32_e32 v50, 0x1400, v56
	;; [unrolled: 1-line block ×4, first 2 shown]
	ds_read2_b64 v[20:23], v48 offset0:110 offset1:229
	ds_read2_b64 v[24:27], v49 offset0:92 offset1:211
	;; [unrolled: 1-line block ×5, first 2 shown]
	s_waitcnt vmcnt(0) lgkmcnt(0)
	s_barrier
	s_add_u32 s6, s8, 0x2c18
	v_mov_b32_e32 v37, 0
	s_addc_u32 s7, s9, 0
	v_cmp_ne_u32_e32 vcc, 0, v36
	v_mul_f32_e32 v53, v1, v21
	v_mul_f32_e32 v54, v1, v20
	;; [unrolled: 1-line block ×10, first 2 shown]
	v_fma_f32 v20, v0, v20, -v53
	v_fmac_f32_e32 v54, v0, v21
	v_fma_f32 v0, v2, v24, -v1
	v_fmac_f32_e32 v3, v2, v25
	;; [unrolled: 2-line block ×5, first 2 shown]
	v_mul_f32_e32 v6, v23, v9
	v_mul_f32_e32 v21, v22, v9
	;; [unrolled: 1-line block ×3, first 2 shown]
	v_add_f32_e32 v33, v0, v2
	v_sub_f32_e32 v40, v3, v7
	v_add_f32_e32 v41, v17, v3
	v_add_f32_e32 v3, v3, v7
	;; [unrolled: 1-line block ×3, first 2 shown]
	v_fmac_f32_e32 v21, v23, v8
	v_fma_f32 v23, v26, v10, -v9
	v_fma_f32 v9, -0.5, v33, v16
	v_fma_f32 v16, -0.5, v3, v17
	v_sub_f32_e32 v0, v0, v2
	v_mov_b32_e32 v17, v16
	v_mul_f32_e32 v24, v26, v11
	v_mul_f32_e32 v11, v31, v13
	v_fmac_f32_e32 v17, 0xbf5db3d7, v0
	v_fmac_f32_e32 v16, 0x3f5db3d7, v0
	v_add_f32_e32 v0, v20, v1
	v_fma_f32 v26, v30, v12, -v11
	v_add_f32_e32 v11, v41, v7
	v_add_f32_e32 v7, v0, v4
	v_add_f32_e32 v0, v1, v4
	v_fmac_f32_e32 v20, -0.5, v0
	v_sub_f32_e32 v0, v5, v45
	v_mov_b32_e32 v3, v20
	v_mul_f32_e32 v13, v30, v13
	v_mul_f32_e32 v25, v35, v15
	v_fmac_f32_e32 v3, 0x3f5db3d7, v0
	v_fmac_f32_e32 v20, 0xbf5db3d7, v0
	v_add_f32_e32 v0, v54, v5
	v_fmac_f32_e32 v13, v31, v12
	v_fma_f32 v12, v34, v14, -v25
	v_add_f32_e32 v25, v0, v45
	v_add_f32_e32 v0, v5, v45
	v_fmac_f32_e32 v54, -0.5, v0
	v_sub_f32_e32 v0, v1, v4
	v_mov_b32_e32 v5, v54
	v_fmac_f32_e32 v54, 0x3f5db3d7, v0
	v_mul_f32_e32 v15, v34, v15
	v_mul_f32_e32 v28, v43, v47
	v_mul_f32_e32 v30, -0.5, v54
	v_fma_f32 v22, v22, v8, -v6
	v_fmac_f32_e32 v15, v35, v14
	v_fma_f32 v14, v42, v46, -v28
	v_add_f32_e32 v6, v32, v2
	v_fmac_f32_e32 v5, 0xbf5db3d7, v0
	v_mul_f32_e32 v28, 0xbf5db3d7, v3
	v_fmac_f32_e32 v30, 0xbf5db3d7, v20
	v_fmac_f32_e32 v24, v27, v10
	v_add_f32_e32 v0, v6, v7
	v_mul_f32_e32 v10, 0x3f5db3d7, v5
	v_add_f32_e32 v1, v11, v25
	v_fmac_f32_e32 v28, 0.5, v5
	v_add_f32_e32 v5, v16, v30
	v_sub_f32_e32 v6, v6, v7
	v_sub_f32_e32 v7, v11, v25
	v_sub_f32_e32 v11, v16, v30
	v_add_f32_e32 v16, v18, v23
	v_mul_f32_e32 v27, -0.5, v20
	v_add_f32_e32 v20, v16, v12
	v_add_f32_e32 v16, v23, v12
	v_fma_f32 v18, -0.5, v16, v18
	v_mov_b32_e32 v8, v9
	v_sub_f32_e32 v16, v24, v15
	v_mov_b32_e32 v25, v18
	v_fmac_f32_e32 v9, 0xbf5db3d7, v40
	v_fmac_f32_e32 v8, 0x3f5db3d7, v40
	v_fmac_f32_e32 v10, 0.5, v3
	v_fmac_f32_e32 v27, 0x3f5db3d7, v54
	v_fmac_f32_e32 v25, 0x3f5db3d7, v16
	;; [unrolled: 1-line block ×3, first 2 shown]
	v_add_f32_e32 v16, v19, v24
	v_add_f32_e32 v2, v8, v10
	;; [unrolled: 1-line block ×3, first 2 shown]
	v_sub_f32_e32 v8, v8, v10
	v_sub_f32_e32 v10, v9, v27
	v_add_f32_e32 v27, v16, v15
	v_add_f32_e32 v15, v24, v15
	v_fmac_f32_e32 v19, -0.5, v15
	v_sub_f32_e32 v12, v23, v12
	v_mov_b32_e32 v23, v19
	v_fmac_f32_e32 v23, 0xbf5db3d7, v12
	v_fmac_f32_e32 v19, 0x3f5db3d7, v12
	v_add_f32_e32 v12, v22, v26
	v_mul_f32_e32 v29, v42, v47
	v_add_f32_e32 v24, v12, v14
	v_add_f32_e32 v12, v26, v14
	v_fmac_f32_e32 v29, v43, v46
	v_fmac_f32_e32 v22, -0.5, v12
	v_sub_f32_e32 v12, v13, v29
	v_mov_b32_e32 v15, v22
	v_fmac_f32_e32 v15, 0x3f5db3d7, v12
	v_fmac_f32_e32 v22, 0xbf5db3d7, v12
	v_add_f32_e32 v12, v21, v13
	v_add_f32_e32 v3, v17, v28
	v_sub_f32_e32 v9, v17, v28
	v_add_f32_e32 v28, v12, v29
	v_add_f32_e32 v12, v13, v29
	v_fmac_f32_e32 v21, -0.5, v12
	v_sub_f32_e32 v12, v26, v14
	v_mov_b32_e32 v17, v21
	v_fmac_f32_e32 v17, 0xbf5db3d7, v12
	v_fmac_f32_e32 v21, 0x3f5db3d7, v12
	v_mul_f32_e32 v26, 0x3f5db3d7, v17
	v_mul_f32_e32 v29, -0.5, v22
	v_mul_f32_e32 v30, 0xbf5db3d7, v15
	v_mul_f32_e32 v31, -0.5, v21
	v_add_f32_e32 v12, v20, v24
	v_fmac_f32_e32 v26, 0.5, v15
	v_fmac_f32_e32 v29, 0x3f5db3d7, v21
	v_add_f32_e32 v13, v27, v28
	v_fmac_f32_e32 v30, 0.5, v17
	v_fmac_f32_e32 v31, 0xbf5db3d7, v22
	v_add_f32_e32 v14, v25, v26
	v_add_f32_e32 v16, v18, v29
	;; [unrolled: 1-line block ×4, first 2 shown]
	v_sub_f32_e32 v20, v20, v24
	v_sub_f32_e32 v22, v25, v26
	;; [unrolled: 1-line block ×6, first 2 shown]
	ds_write2_b64 v56, v[0:1], v[12:13] offset1:119
	ds_write2_b64 v48, v[2:3], v[14:15] offset0:110 offset1:229
	ds_write2_b64 v49, v[4:5], v[16:17] offset0:92 offset1:211
	ds_write2_b64 v50, v[6:7], v[20:21] offset0:74 offset1:193
	ds_write2_b64 v51, v[8:9], v[22:23] offset0:56 offset1:175
	ds_write2_b64 v52, v[10:11], v[18:19] offset0:38 offset1:157
	s_waitcnt lgkmcnt(0)
	s_barrier
	ds_read_b64 v[0:1], v56
	v_lshlrev_b32_e32 v2, 3, v36
	v_sub_u32_e32 v6, 0, v2
                                        ; implicit-def: $vgpr2
                                        ; implicit-def: $vgpr7
                                        ; implicit-def: $vgpr8
                                        ; implicit-def: $vgpr4_vgpr5
	s_and_saveexec_b64 s[4:5], vcc
	s_xor_b64 s[4:5], exec, s[4:5]
	s_cbranch_execz .LBB0_19
; %bb.18:
	v_lshlrev_b64 v[2:3], 3, v[36:37]
	v_mov_b32_e32 v4, s7
	v_add_co_u32_e32 v2, vcc, s6, v2
	v_addc_co_u32_e32 v3, vcc, v4, v3, vcc
	global_load_dwordx2 v[2:3], v[2:3], off
	ds_read_b64 v[4:5], v6 offset:11424
	s_waitcnt lgkmcnt(0)
	v_add_f32_e32 v9, v4, v0
	v_sub_f32_e32 v0, v0, v4
	v_add_f32_e32 v7, v5, v1
	v_sub_f32_e32 v1, v1, v5
	v_mul_f32_e32 v0, 0.5, v0
	v_mul_f32_e32 v4, 0.5, v7
	;; [unrolled: 1-line block ×3, first 2 shown]
	s_waitcnt vmcnt(0)
	v_mul_f32_e32 v5, v3, v0
	v_fma_f32 v8, v4, v3, v1
	v_fma_f32 v1, v4, v3, -v1
	v_fma_f32 v7, 0.5, v9, v5
	v_fma_f32 v5, v9, 0.5, -v5
	v_fma_f32 v8, -v2, v0, v8
	v_fma_f32 v3, -v2, v0, v1
	v_fmac_f32_e32 v7, v2, v4
	v_fma_f32 v2, -v2, v4, v5
	v_mov_b32_e32 v4, v36
	v_mov_b32_e32 v5, v37
                                        ; implicit-def: $vgpr0_vgpr1
.LBB0_19:
	s_andn2_saveexec_b64 s[4:5], s[4:5]
	s_cbranch_execz .LBB0_21
; %bb.20:
	v_mov_b32_e32 v8, 0
	ds_read_b32 v3, v8 offset:5716
	v_mov_b32_e32 v4, 0
	s_waitcnt lgkmcnt(1)
	v_add_f32_e32 v7, v0, v1
	v_sub_f32_e32 v2, v0, v1
	v_mov_b32_e32 v5, 0
	s_waitcnt lgkmcnt(0)
	v_xor_b32_e32 v0, 0x80000000, v3
	v_mov_b32_e32 v3, 0
	ds_write_b32 v8, v0 offset:5716
.LBB0_21:
	s_or_b64 exec, exec, s[4:5]
	s_waitcnt lgkmcnt(0)
	v_lshlrev_b64 v[0:1], 3, v[4:5]
	v_mov_b32_e32 v5, s7
	v_add_co_u32_e32 v4, vcc, s6, v0
	v_addc_co_u32_e32 v5, vcc, v5, v1, vcc
	global_load_dwordx2 v[9:10], v[4:5], off offset:952
	global_load_dwordx2 v[11:12], v[4:5], off offset:1904
	;; [unrolled: 1-line block ×3, first 2 shown]
	ds_write2_b32 v56, v7, v8 offset1:1
	ds_write_b64 v6, v[2:3] offset:11424
	ds_read_b64 v[7:8], v56 offset:952
	ds_read_b64 v[15:16], v6 offset:10472
	global_load_dwordx2 v[17:18], v[4:5], off offset:3808
	s_movk_i32 s4, 0x1000
	v_add_u32_e32 v2, 0x400, v56
	s_waitcnt lgkmcnt(0)
	v_add_f32_e32 v3, v7, v15
	v_sub_f32_e32 v7, v7, v15
	v_add_f32_e32 v19, v8, v16
	v_sub_f32_e32 v8, v8, v16
	v_mul_f32_e32 v7, 0.5, v7
	v_mul_f32_e32 v15, 0.5, v19
	;; [unrolled: 1-line block ×3, first 2 shown]
	s_waitcnt vmcnt(3)
	v_mul_f32_e32 v16, v10, v7
	v_fma_f32 v19, v15, v10, v8
	v_fma_f32 v8, v15, v10, -v8
	v_fma_f32 v10, 0.5, v3, v16
	v_fma_f32 v3, v3, 0.5, -v16
	v_fma_f32 v19, -v9, v7, v19
	v_fma_f32 v8, -v9, v7, v8
	v_fmac_f32_e32 v10, v9, v15
	v_fma_f32 v7, -v9, v15, v3
	v_add_co_u32_e32 v3, vcc, s4, v4
	ds_write2_b32 v56, v10, v19 offset0:238 offset1:239
	ds_write_b64 v6, v[7:8] offset:10472
	v_addc_co_u32_e32 v4, vcc, 0, v5, vcc
	ds_read_b64 v[7:8], v56 offset:1904
	ds_read_b64 v[9:10], v6 offset:9520
	global_load_dwordx2 v[4:5], v[3:4], off offset:664
	s_waitcnt lgkmcnt(0)
	v_add_f32_e32 v3, v7, v9
	v_sub_f32_e32 v7, v7, v9
	v_add_f32_e32 v15, v8, v10
	v_sub_f32_e32 v8, v8, v10
	v_mul_f32_e32 v7, 0.5, v7
	v_mul_f32_e32 v9, 0.5, v15
	;; [unrolled: 1-line block ×3, first 2 shown]
	s_waitcnt vmcnt(3)
	v_mul_f32_e32 v10, v12, v7
	v_fma_f32 v15, v9, v12, v8
	v_fma_f32 v8, v9, v12, -v8
	v_fma_f32 v12, 0.5, v3, v10
	v_fma_f32 v15, -v11, v7, v15
	v_fma_f32 v3, v3, 0.5, -v10
	v_fmac_f32_e32 v12, v11, v9
	v_fma_f32 v8, -v11, v7, v8
	v_fma_f32 v7, -v11, v9, v3
	ds_write2_b32 v2, v12, v15 offset0:220 offset1:221
	ds_write_b64 v6, v[7:8] offset:9520
	ds_read_b64 v[7:8], v56 offset:2856
	ds_read_b64 v[9:10], v6 offset:8568
	v_add_u32_e32 v3, 0x800, v56
	s_waitcnt lgkmcnt(0)
	v_add_f32_e32 v11, v7, v9
	v_sub_f32_e32 v7, v7, v9
	v_add_f32_e32 v12, v8, v10
	v_sub_f32_e32 v8, v8, v10
	v_mul_f32_e32 v7, 0.5, v7
	v_mul_f32_e32 v9, 0.5, v12
	;; [unrolled: 1-line block ×3, first 2 shown]
	s_waitcnt vmcnt(2)
	v_mul_f32_e32 v10, v14, v7
	v_fma_f32 v12, v9, v14, v8
	v_fma_f32 v8, v9, v14, -v8
	v_fma_f32 v14, 0.5, v11, v10
	v_fma_f32 v12, -v13, v7, v12
	v_fma_f32 v10, v11, 0.5, -v10
	v_fmac_f32_e32 v14, v13, v9
	v_fma_f32 v8, -v13, v7, v8
	v_fma_f32 v7, -v13, v9, v10
	ds_write2_b32 v3, v14, v12 offset0:202 offset1:203
	ds_write_b64 v6, v[7:8] offset:8568
	ds_read_b64 v[7:8], v56 offset:3808
	ds_read_b64 v[9:10], v6 offset:7616
	v_add_u32_e32 v3, 0xc00, v56
	s_waitcnt lgkmcnt(0)
	v_add_f32_e32 v11, v7, v9
	v_sub_f32_e32 v7, v7, v9
	v_add_f32_e32 v12, v8, v10
	v_sub_f32_e32 v8, v8, v10
	v_mul_f32_e32 v7, 0.5, v7
	v_mul_f32_e32 v9, 0.5, v12
	;; [unrolled: 1-line block ×3, first 2 shown]
	s_waitcnt vmcnt(1)
	v_mul_f32_e32 v10, v18, v7
	v_fma_f32 v12, v9, v18, v8
	v_fma_f32 v13, 0.5, v11, v10
	v_fma_f32 v8, v9, v18, -v8
	v_fma_f32 v12, -v17, v7, v12
	v_fma_f32 v10, v11, 0.5, -v10
	v_fmac_f32_e32 v13, v17, v9
	v_fma_f32 v8, -v17, v7, v8
	v_fma_f32 v7, -v17, v9, v10
	ds_write2_b32 v3, v13, v12 offset0:184 offset1:185
	ds_write_b64 v6, v[7:8] offset:7616
	ds_read_b64 v[7:8], v56 offset:4760
	ds_read_b64 v[9:10], v6 offset:6664
	v_add_u32_e32 v11, 0x1000, v56
	s_waitcnt lgkmcnt(0)
	v_add_f32_e32 v12, v7, v9
	v_sub_f32_e32 v7, v7, v9
	v_add_f32_e32 v13, v8, v10
	v_sub_f32_e32 v8, v8, v10
	v_mul_f32_e32 v7, 0.5, v7
	v_mul_f32_e32 v9, 0.5, v13
	;; [unrolled: 1-line block ×3, first 2 shown]
	s_waitcnt vmcnt(0)
	v_mul_f32_e32 v10, v5, v7
	v_fma_f32 v13, v9, v5, v8
	v_fma_f32 v5, v9, v5, -v8
	v_fma_f32 v8, 0.5, v12, v10
	v_fma_f32 v13, -v4, v7, v13
	v_fma_f32 v10, v12, 0.5, -v10
	v_fmac_f32_e32 v8, v4, v9
	v_fma_f32 v5, -v4, v7, v5
	v_fma_f32 v4, -v4, v9, v10
	ds_write2_b32 v11, v8, v13 offset0:166 offset1:167
	ds_write_b64 v6, v[4:5] offset:6664
	s_waitcnt lgkmcnt(0)
	s_barrier
	s_and_saveexec_b64 s[6:7], s[0:1]
	s_cbranch_execz .LBB0_24
; %bb.22:
	ds_read2_b64 v[6:9], v56 offset1:119
	v_mov_b32_e32 v4, s3
	v_add_co_u32_e32 v5, vcc, s2, v38
	v_addc_co_u32_e32 v4, vcc, v4, v39, vcc
	ds_read2_b64 v[10:13], v2 offset0:110 offset1:229
	v_add_co_u32_e32 v14, vcc, v5, v0
	v_addc_co_u32_e32 v15, vcc, v4, v1, vcc
	ds_read2_b64 v[0:3], v3 offset0:92 offset1:211
	s_waitcnt lgkmcnt(2)
	global_store_dwordx2 v[14:15], v[6:7], off
	global_store_dwordx2 v[14:15], v[8:9], off offset:952
	s_waitcnt lgkmcnt(1)
	global_store_dwordx2 v[14:15], v[10:11], off offset:1904
	global_store_dwordx2 v[14:15], v[12:13], off offset:2856
	s_waitcnt lgkmcnt(0)
	global_store_dwordx2 v[14:15], v[0:1], off offset:3808
	v_add_u32_e32 v0, 0x1400, v56
	ds_read2_b64 v[6:9], v0 offset0:74 offset1:193
	v_add_u32_e32 v0, 0x1c00, v56
	ds_read2_b64 v[10:13], v0 offset0:56 offset1:175
	v_add_co_u32_e32 v0, vcc, s4, v14
	v_addc_co_u32_e32 v1, vcc, 0, v15, vcc
	global_store_dwordx2 v[0:1], v[2:3], off offset:664
	s_waitcnt lgkmcnt(1)
	global_store_dwordx2 v[0:1], v[6:7], off offset:1616
	global_store_dwordx2 v[0:1], v[8:9], off offset:2568
	s_waitcnt lgkmcnt(0)
	global_store_dwordx2 v[0:1], v[10:11], off offset:3520
	v_add_u32_e32 v0, 0x2400, v56
	ds_read2_b64 v[0:3], v0 offset0:38 offset1:157
	v_add_co_u32_e32 v6, vcc, 0x2000, v14
	v_addc_co_u32_e32 v7, vcc, 0, v15, vcc
	s_movk_i32 s0, 0x76
	v_cmp_eq_u32_e32 vcc, s0, v36
	global_store_dwordx2 v[6:7], v[12:13], off offset:376
	s_waitcnt lgkmcnt(0)
	global_store_dwordx2 v[6:7], v[0:1], off offset:1328
	global_store_dwordx2 v[6:7], v[2:3], off offset:2280
	s_and_b64 exec, exec, vcc
	s_cbranch_execz .LBB0_24
; %bb.23:
	v_mov_b32_e32 v0, 0
	ds_read_b64 v[0:1], v0 offset:11424
	v_add_co_u32_e32 v2, vcc, 0x2000, v5
	v_addc_co_u32_e32 v3, vcc, 0, v4, vcc
	s_waitcnt lgkmcnt(0)
	global_store_dwordx2 v[2:3], v[0:1], off offset:3232
.LBB0_24:
	s_endpgm
	.section	.rodata,"a",@progbits
	.p2align	6, 0x0
	.amdhsa_kernel fft_rtc_fwd_len1428_factors_17_2_7_6_wgs_119_tpt_119_halfLds_sp_ip_CI_unitstride_sbrr_R2C_dirReg
		.amdhsa_group_segment_fixed_size 0
		.amdhsa_private_segment_fixed_size 0
		.amdhsa_kernarg_size 88
		.amdhsa_user_sgpr_count 6
		.amdhsa_user_sgpr_private_segment_buffer 1
		.amdhsa_user_sgpr_dispatch_ptr 0
		.amdhsa_user_sgpr_queue_ptr 0
		.amdhsa_user_sgpr_kernarg_segment_ptr 1
		.amdhsa_user_sgpr_dispatch_id 0
		.amdhsa_user_sgpr_flat_scratch_init 0
		.amdhsa_user_sgpr_private_segment_size 0
		.amdhsa_uses_dynamic_stack 0
		.amdhsa_system_sgpr_private_segment_wavefront_offset 0
		.amdhsa_system_sgpr_workgroup_id_x 1
		.amdhsa_system_sgpr_workgroup_id_y 0
		.amdhsa_system_sgpr_workgroup_id_z 0
		.amdhsa_system_sgpr_workgroup_info 0
		.amdhsa_system_vgpr_workitem_id 0
		.amdhsa_next_free_vgpr 150
		.amdhsa_next_free_sgpr 22
		.amdhsa_reserve_vcc 1
		.amdhsa_reserve_flat_scratch 0
		.amdhsa_float_round_mode_32 0
		.amdhsa_float_round_mode_16_64 0
		.amdhsa_float_denorm_mode_32 3
		.amdhsa_float_denorm_mode_16_64 3
		.amdhsa_dx10_clamp 1
		.amdhsa_ieee_mode 1
		.amdhsa_fp16_overflow 0
		.amdhsa_exception_fp_ieee_invalid_op 0
		.amdhsa_exception_fp_denorm_src 0
		.amdhsa_exception_fp_ieee_div_zero 0
		.amdhsa_exception_fp_ieee_overflow 0
		.amdhsa_exception_fp_ieee_underflow 0
		.amdhsa_exception_fp_ieee_inexact 0
		.amdhsa_exception_int_div_zero 0
	.end_amdhsa_kernel
	.text
.Lfunc_end0:
	.size	fft_rtc_fwd_len1428_factors_17_2_7_6_wgs_119_tpt_119_halfLds_sp_ip_CI_unitstride_sbrr_R2C_dirReg, .Lfunc_end0-fft_rtc_fwd_len1428_factors_17_2_7_6_wgs_119_tpt_119_halfLds_sp_ip_CI_unitstride_sbrr_R2C_dirReg
                                        ; -- End function
	.section	.AMDGPU.csdata,"",@progbits
; Kernel info:
; codeLenInByte = 11136
; NumSgprs: 26
; NumVgprs: 150
; ScratchSize: 0
; MemoryBound: 0
; FloatMode: 240
; IeeeMode: 1
; LDSByteSize: 0 bytes/workgroup (compile time only)
; SGPRBlocks: 3
; VGPRBlocks: 37
; NumSGPRsForWavesPerEU: 26
; NumVGPRsForWavesPerEU: 150
; Occupancy: 1
; WaveLimiterHint : 1
; COMPUTE_PGM_RSRC2:SCRATCH_EN: 0
; COMPUTE_PGM_RSRC2:USER_SGPR: 6
; COMPUTE_PGM_RSRC2:TRAP_HANDLER: 0
; COMPUTE_PGM_RSRC2:TGID_X_EN: 1
; COMPUTE_PGM_RSRC2:TGID_Y_EN: 0
; COMPUTE_PGM_RSRC2:TGID_Z_EN: 0
; COMPUTE_PGM_RSRC2:TIDIG_COMP_CNT: 0
	.type	__hip_cuid_21dfd38620ec72e7,@object ; @__hip_cuid_21dfd38620ec72e7
	.section	.bss,"aw",@nobits
	.globl	__hip_cuid_21dfd38620ec72e7
__hip_cuid_21dfd38620ec72e7:
	.byte	0                               ; 0x0
	.size	__hip_cuid_21dfd38620ec72e7, 1

	.ident	"AMD clang version 19.0.0git (https://github.com/RadeonOpenCompute/llvm-project roc-6.4.0 25133 c7fe45cf4b819c5991fe208aaa96edf142730f1d)"
	.section	".note.GNU-stack","",@progbits
	.addrsig
	.addrsig_sym __hip_cuid_21dfd38620ec72e7
	.amdgpu_metadata
---
amdhsa.kernels:
  - .args:
      - .actual_access:  read_only
        .address_space:  global
        .offset:         0
        .size:           8
        .value_kind:     global_buffer
      - .offset:         8
        .size:           8
        .value_kind:     by_value
      - .actual_access:  read_only
        .address_space:  global
        .offset:         16
        .size:           8
        .value_kind:     global_buffer
      - .actual_access:  read_only
        .address_space:  global
        .offset:         24
        .size:           8
        .value_kind:     global_buffer
      - .offset:         32
        .size:           8
        .value_kind:     by_value
      - .actual_access:  read_only
        .address_space:  global
        .offset:         40
        .size:           8
        .value_kind:     global_buffer
      - .actual_access:  read_only
        .address_space:  global
        .offset:         48
        .size:           8
        .value_kind:     global_buffer
      - .offset:         56
        .size:           4
        .value_kind:     by_value
      - .actual_access:  read_only
        .address_space:  global
        .offset:         64
        .size:           8
        .value_kind:     global_buffer
      - .actual_access:  read_only
        .address_space:  global
        .offset:         72
        .size:           8
        .value_kind:     global_buffer
      - .address_space:  global
        .offset:         80
        .size:           8
        .value_kind:     global_buffer
    .group_segment_fixed_size: 0
    .kernarg_segment_align: 8
    .kernarg_segment_size: 88
    .language:       OpenCL C
    .language_version:
      - 2
      - 0
    .max_flat_workgroup_size: 119
    .name:           fft_rtc_fwd_len1428_factors_17_2_7_6_wgs_119_tpt_119_halfLds_sp_ip_CI_unitstride_sbrr_R2C_dirReg
    .private_segment_fixed_size: 0
    .sgpr_count:     26
    .sgpr_spill_count: 0
    .symbol:         fft_rtc_fwd_len1428_factors_17_2_7_6_wgs_119_tpt_119_halfLds_sp_ip_CI_unitstride_sbrr_R2C_dirReg.kd
    .uniform_work_group_size: 1
    .uses_dynamic_stack: false
    .vgpr_count:     150
    .vgpr_spill_count: 0
    .wavefront_size: 64
amdhsa.target:   amdgcn-amd-amdhsa--gfx906
amdhsa.version:
  - 1
  - 2
...

	.end_amdgpu_metadata
